;; amdgpu-corpus repo=ROCm/rocFFT kind=compiled arch=gfx90a opt=O3
	.text
	.amdgcn_target "amdgcn-amd-amdhsa--gfx90a"
	.amdhsa_code_object_version 6
	.protected	bluestein_single_back_len1960_dim1_dp_op_CI_CI ; -- Begin function bluestein_single_back_len1960_dim1_dp_op_CI_CI
	.globl	bluestein_single_back_len1960_dim1_dp_op_CI_CI
	.p2align	8
	.type	bluestein_single_back_len1960_dim1_dp_op_CI_CI,@function
bluestein_single_back_len1960_dim1_dp_op_CI_CI: ; @bluestein_single_back_len1960_dim1_dp_op_CI_CI
; %bb.0:
	s_mov_b64 s[38:39], s[2:3]
	s_mov_b64 s[36:37], s[0:1]
	s_load_dwordx4 s[0:3], s[4:5], 0x28
	v_mul_u32_u24_e32 v1, 0x493, v0
	v_mov_b32_e32 v89, 0
	s_add_u32 s36, s36, s7
	v_add_u32_sdwa v4, s6, v1 dst_sel:DWORD dst_unused:UNUSED_PAD src0_sel:DWORD src1_sel:WORD_1
	v_mov_b32_e32 v5, v89
	s_addc_u32 s37, s37, 0
	s_waitcnt lgkmcnt(0)
	v_cmp_gt_u64_e32 vcc, s[0:1], v[4:5]
	s_and_saveexec_b64 s[0:1], vcc
	s_cbranch_execz .LBB0_23
; %bb.1:
	s_load_dwordx4 s[8:11], s[4:5], 0x18
	s_load_dwordx2 s[6:7], s[4:5], 0x0
	s_load_dwordx2 s[16:17], s[4:5], 0x38
	v_mov_b32_e32 v2, 56
	v_mul_lo_u16_sdwa v1, v1, v2 dst_sel:DWORD dst_unused:UNUSED_PAD src0_sel:WORD_1 src1_sel:DWORD
	s_waitcnt lgkmcnt(0)
	s_load_dwordx4 s[12:15], s[8:9], 0x0
	v_sub_u16_e32 v244, v0, v1
	v_accvgpr_write_b32 a74, v4
	v_lshlrev_b32_e32 v224, 4, v244
	v_mov_b32_e32 v81, 0xffffa7a0
	s_waitcnt lgkmcnt(0)
	v_mad_u64_u32 v[0:1], s[0:1], s14, v4, 0
	v_mov_b32_e32 v2, v1
	v_mad_u64_u32 v[2:3], s[0:1], s15, v4, v[2:3]
	v_mov_b32_e32 v1, v2
	;; [unrolled: 2-line block ×3, first 2 shown]
	v_mad_u64_u32 v[4:5], s[0:1], s13, v244, v[4:5]
	v_lshlrev_b64 v[0:1], 4, v[0:1]
	v_mov_b32_e32 v3, v4
	v_mov_b32_e32 v4, s3
	v_add_co_u32_e32 v78, vcc, s2, v0
	v_addc_co_u32_e32 v79, vcc, v4, v1, vcc
	v_lshlrev_b64 v[0:1], 4, v[2:3]
	v_add_co_u32_e32 v4, vcc, v78, v0
	v_addc_co_u32_e32 v5, vcc, v79, v1, vcc
	s_mul_i32 s0, s13, 0x1ea
	s_mul_hi_u32 s1, s12, 0x1ea
	v_mov_b32_e32 v0, s7
	v_add_co_u32_e32 v86, vcc, s6, v224
	s_add_i32 s1, s1, s0
	s_mul_i32 s0, s12, 0x1ea
	v_addc_co_u32_e32 v87, vcc, 0, v0, vcc
	s_lshl_b64 s[2:3], s[0:1], 4
	v_mov_b32_e32 v80, s3
	v_add_co_u32_e32 v6, vcc, s2, v4
	v_addc_co_u32_e32 v7, vcc, v5, v80, vcc
	s_movk_i32 s0, 0x1000
	v_add_co_u32_e32 v68, vcc, s0, v86
	v_addc_co_u32_e32 v69, vcc, 0, v87, vcc
	v_add_co_u32_e32 v8, vcc, s2, v6
	v_addc_co_u32_e32 v9, vcc, v7, v80, vcc
	s_movk_i32 s0, 0x3000
	v_add_co_u32_e32 v64, vcc, s0, v86
	v_addc_co_u32_e32 v65, vcc, 0, v87, vcc
	v_add_co_u32_e32 v12, vcc, s2, v8
	v_addc_co_u32_e32 v13, vcc, v9, v80, vcc
	s_movk_i32 s0, 0x5000
	v_add_co_u32_e32 v66, vcc, s0, v86
	v_mad_u64_u32 v[16:17], s[0:1], s12, v81, v[12:13]
	s_mul_i32 s0, s13, 0xffffa7a0
	s_sub_i32 s0, s0, s12
	v_addc_co_u32_e32 v67, vcc, 0, v87, vcc
	v_add_u32_e32 v17, s0, v17
	s_load_dwordx4 s[8:11], s[10:11], 0x0
	global_load_dwordx4 v[60:63], v[4:5], off
	global_load_dwordx4 v[0:3], v[6:7], off
	global_load_dwordx4 v[94:97], v[68:69], off offset:3744
	global_load_dwordx4 v[106:109], v[64:65], off offset:3392
	;; [unrolled: 1-line block ×3, first 2 shown]
	v_add_co_u32_e32 v20, vcc, s2, v16
	global_load_dwordx4 v[4:7], v[8:9], off
	v_addc_co_u32_e32 v21, vcc, v17, v80, vcc
	global_load_dwordx4 v[8:11], v[12:13], off
	s_nop 0
	global_load_dwordx4 v[12:15], v[16:17], off
	global_load_dwordx4 v[90:93], v224, s[6:7]
	global_load_dwordx4 v[126:129], v224, s[6:7] offset:896
	s_movk_i32 s1, 0x2000
	v_add_co_u32_e32 v72, vcc, s1, v86
	v_addc_co_u32_e32 v73, vcc, 0, v87, vcc
	v_add_co_u32_e32 v24, vcc, s2, v20
	v_addc_co_u32_e32 v25, vcc, v21, v80, vcc
	s_movk_i32 s1, 0x4000
	v_add_co_u32_e32 v70, vcc, s1, v86
	v_addc_co_u32_e32 v71, vcc, 0, v87, vcc
	v_add_co_u32_e32 v28, vcc, s2, v24
	v_addc_co_u32_e32 v29, vcc, v25, v80, vcc
	v_mad_u64_u32 v[32:33], s[14:15], s12, v81, v[28:29]
	v_add_u32_e32 v33, s0, v33
	v_add_co_u32_e32 v36, vcc, s2, v32
	v_addc_co_u32_e32 v37, vcc, v33, v80, vcc
	v_add_co_u32_e32 v40, vcc, s2, v36
	v_addc_co_u32_e32 v41, vcc, v37, v80, vcc
	global_load_dwordx4 v[16:19], v[20:21], off
	global_load_dwordx4 v[134:137], v[72:73], off offset:544
	global_load_dwordx4 v[146:149], v[70:71], off offset:192
	s_movk_i32 s1, 0x6000
	global_load_dwordx4 v[20:23], v[24:25], off
	s_nop 0
	global_load_dwordx4 v[24:27], v[28:29], off
	global_load_dwordx4 v[150:153], v[66:67], off offset:3936
	s_nop 0
	global_load_dwordx4 v[28:31], v[32:33], off
	global_load_dwordx4 v[114:117], v224, s[6:7] offset:1792
	s_nop 0
	global_load_dwordx4 v[32:35], v[36:37], off
	global_load_dwordx4 v[110:113], v[72:73], off offset:1440
	s_nop 0
	global_load_dwordx4 v[36:39], v[40:41], off
	global_load_dwordx4 v[98:101], v[70:71], off offset:1088
	v_add_co_u32_e32 v40, vcc, s2, v40
	v_addc_co_u32_e32 v41, vcc, v41, v80, vcc
	global_load_dwordx4 v[44:47], v[40:41], off
	v_add_co_u32_e32 v74, vcc, s1, v86
	v_mad_u64_u32 v[40:41], s[14:15], s12, v81, v[40:41]
	v_addc_co_u32_e32 v75, vcc, 0, v87, vcc
	v_add_u32_e32 v41, s0, v41
	global_load_dwordx4 v[102:105], v[74:75], off offset:736
	global_load_dwordx4 v[48:51], v[40:41], off
	global_load_dwordx4 v[122:125], v224, s[6:7] offset:2688
	v_add_co_u32_e32 v40, vcc, s2, v40
	v_addc_co_u32_e32 v41, vcc, v41, v80, vcc
	global_load_dwordx4 v[52:55], v[40:41], off
	global_load_dwordx4 v[130:133], v[72:73], off offset:2336
	v_add_co_u32_e32 v40, vcc, s2, v40
	v_addc_co_u32_e32 v41, vcc, v41, v80, vcc
	v_add_co_u32_e32 v76, vcc, s2, v40
	v_addc_co_u32_e32 v77, vcc, v41, v80, vcc
	global_load_dwordx4 v[56:59], v[40:41], off
	global_load_dwordx4 v[138:141], v[70:71], off offset:1984
	s_nop 0
	global_load_dwordx4 v[40:43], v[76:77], off
	global_load_dwordx4 v[142:145], v[74:75], off offset:1632
	s_movk_i32 s1, 0x7000
	v_or_b32_e32 v88, 0x1c0, v244
	v_accvgpr_write_b32 a2, v88
	s_waitcnt vmcnt(23)
	v_mul_f64 v[82:83], v[62:63], v[92:93]
	v_fmac_f64_e32 v[82:83], v[60:61], v[90:91]
	v_mul_f64 v[60:61], v[60:61], v[92:93]
	buffer_store_dword v90, off, s[36:39], 0 offset:296 ; 4-byte Folded Spill
	s_nop 0
	buffer_store_dword v91, off, s[36:39], 0 offset:300 ; 4-byte Folded Spill
	buffer_store_dword v92, off, s[36:39], 0 offset:304 ; 4-byte Folded Spill
	;; [unrolled: 1-line block ×3, first 2 shown]
	v_fma_f64 v[84:85], v[62:63], v[90:91], -v[60:61]
	v_mul_f64 v[60:61], v[2:3], v[96:97]
	ds_write_b128 v224, v[82:85]
	global_load_dwordx4 v[90:93], v[68:69], off offset:2176
	v_fmac_f64_e32 v[60:61], v[0:1], v[94:95]
	v_mul_f64 v[0:1], v[0:1], v[96:97]
	buffer_store_dword v94, off, s[36:39], 0 offset:584 ; 4-byte Folded Spill
	s_nop 0
	buffer_store_dword v95, off, s[36:39], 0 offset:588 ; 4-byte Folded Spill
	buffer_store_dword v96, off, s[36:39], 0 offset:592 ; 4-byte Folded Spill
	buffer_store_dword v97, off, s[36:39], 0 offset:596 ; 4-byte Folded Spill
	v_fma_f64 v[62:63], v[2:3], v[94:95], -v[0:1]
	v_mul_f64 v[0:1], v[6:7], v[108:109]
	ds_write_b128 v224, v[60:63] offset:7840
	global_load_dwordx4 v[94:97], v[64:65], off offset:1824
	v_fmac_f64_e32 v[0:1], v[4:5], v[106:107]
	v_mul_f64 v[2:3], v[4:5], v[108:109]
	buffer_store_dword v106, off, s[36:39], 0 offset:568 ; 4-byte Folded Spill
	s_nop 0
	buffer_store_dword v107, off, s[36:39], 0 offset:572 ; 4-byte Folded Spill
	buffer_store_dword v108, off, s[36:39], 0 offset:576 ; 4-byte Folded Spill
	;; [unrolled: 1-line block ×3, first 2 shown]
	s_waitcnt vmcnt(14)
	v_mul_f64 v[4:5], v[42:43], v[144:145]
	v_fmac_f64_e32 v[4:5], v[40:41], v[142:143]
	v_fma_f64 v[2:3], v[6:7], v[106:107], -v[2:3]
	ds_write_b128 v224, v[0:3] offset:15680
	v_mul_f64 v[0:1], v[10:11], v[120:121]
	v_fmac_f64_e32 v[0:1], v[8:9], v[118:119]
	v_mul_f64 v[2:3], v[8:9], v[120:121]
	buffer_store_dword v118, off, s[36:39], 0 offset:552 ; 4-byte Folded Spill
	s_nop 0
	buffer_store_dword v119, off, s[36:39], 0 offset:556 ; 4-byte Folded Spill
	buffer_store_dword v120, off, s[36:39], 0 offset:560 ; 4-byte Folded Spill
	;; [unrolled: 1-line block ×3, first 2 shown]
	v_mul_f64 v[6:7], v[40:41], v[144:145]
	v_fma_f64 v[2:3], v[10:11], v[118:119], -v[2:3]
	ds_write_b128 v224, v[0:3] offset:23520
	v_mul_f64 v[0:1], v[14:15], v[128:129]
	v_fmac_f64_e32 v[0:1], v[12:13], v[126:127]
	v_mul_f64 v[2:3], v[12:13], v[128:129]
	buffer_store_dword v126, off, s[36:39], 0 offset:536 ; 4-byte Folded Spill
	s_nop 0
	buffer_store_dword v127, off, s[36:39], 0 offset:540 ; 4-byte Folded Spill
	buffer_store_dword v128, off, s[36:39], 0 offset:544 ; 4-byte Folded Spill
	buffer_store_dword v129, off, s[36:39], 0 offset:548 ; 4-byte Folded Spill
	v_fma_f64 v[2:3], v[14:15], v[126:127], -v[2:3]
	ds_write_b128 v224, v[0:3] offset:896
	v_mul_f64 v[0:1], v[18:19], v[136:137]
	v_fmac_f64_e32 v[0:1], v[16:17], v[134:135]
	v_mul_f64 v[2:3], v[16:17], v[136:137]
	buffer_store_dword v134, off, s[36:39], 0 offset:520 ; 4-byte Folded Spill
	s_nop 0
	buffer_store_dword v135, off, s[36:39], 0 offset:524 ; 4-byte Folded Spill
	buffer_store_dword v136, off, s[36:39], 0 offset:528 ; 4-byte Folded Spill
	buffer_store_dword v137, off, s[36:39], 0 offset:532 ; 4-byte Folded Spill
	;; [unrolled: 10-line block ×9, first 2 shown]
	global_load_dwordx4 v[150:153], v[72:73], off offset:3232
	v_fma_f64 v[2:3], v[50:51], v[122:123], -v[2:3]
	ds_write_b128 v224, v[0:3] offset:2688
	v_mul_f64 v[0:1], v[54:55], v[132:133]
	v_fmac_f64_e32 v[0:1], v[52:53], v[130:131]
	v_mul_f64 v[2:3], v[52:53], v[132:133]
	buffer_store_dword v130, off, s[36:39], 0 offset:376 ; 4-byte Folded Spill
	s_nop 0
	buffer_store_dword v131, off, s[36:39], 0 offset:380 ; 4-byte Folded Spill
	buffer_store_dword v132, off, s[36:39], 0 offset:384 ; 4-byte Folded Spill
	;; [unrolled: 1-line block ×3, first 2 shown]
	global_load_dwordx4 v[146:149], v[70:71], off offset:2880
	v_fma_f64 v[2:3], v[54:55], v[130:131], -v[2:3]
	ds_write_b128 v224, v[0:3] offset:10528
	v_mul_f64 v[0:1], v[58:59], v[140:141]
	v_fmac_f64_e32 v[0:1], v[56:57], v[138:139]
	v_mul_f64 v[2:3], v[56:57], v[140:141]
	buffer_store_dword v138, off, s[36:39], 0 offset:360 ; 4-byte Folded Spill
	s_nop 0
	buffer_store_dword v139, off, s[36:39], 0 offset:364 ; 4-byte Folded Spill
	buffer_store_dword v140, off, s[36:39], 0 offset:368 ; 4-byte Folded Spill
	;; [unrolled: 1-line block ×3, first 2 shown]
	v_fma_f64 v[2:3], v[58:59], v[138:139], -v[2:3]
	ds_write_b128 v224, v[0:3] offset:18368
	v_mad_u64_u32 v[0:1], s[14:15], s12, v81, v[76:77]
	v_add_u32_e32 v1, s0, v1
	global_load_dwordx4 v[8:11], v[0:1], off
	global_load_dwordx4 v[138:141], v224, s[6:7] offset:3584
	v_add_co_u32_e32 v0, vcc, s2, v0
	v_addc_co_u32_e32 v1, vcc, v1, v80, vcc
	global_load_dwordx4 v[12:15], v[0:1], off
	v_add_co_u32_e32 v0, vcc, s2, v0
	v_addc_co_u32_e32 v1, vcc, v1, v80, vcc
	global_load_dwordx4 v[16:19], v[0:1], off
	;; [unrolled: 3-line block ×3, first 2 shown]
	global_load_dwordx4 v[134:137], v[74:75], off offset:2528
	v_mad_u64_u32 v[0:1], s[14:15], s12, v81, v[0:1]
	v_add_u32_e32 v1, s0, v1
	global_load_dwordx4 v[24:27], v[0:1], off
	global_load_dwordx4 v[130:133], v[68:69], off offset:384
	v_add_co_u32_e32 v0, vcc, s2, v0
	v_addc_co_u32_e32 v1, vcc, v1, v80, vcc
	global_load_dwordx4 v[28:31], v[0:1], off
	global_load_dwordx4 v[126:129], v[64:65], off offset:32
	v_add_co_u32_e32 v0, vcc, s2, v0
	v_addc_co_u32_e32 v1, vcc, v1, v80, vcc
	;; [unrolled: 4-line block ×3, first 2 shown]
	global_load_dwordx4 v[36:39], v[0:1], off
	global_load_dwordx4 v[118:121], v[74:75], off offset:3424
	v_mad_u64_u32 v[0:1], s[14:15], s12, v81, v[0:1]
	v_add_u32_e32 v1, s0, v1
	global_load_dwordx4 v[44:47], v[0:1], off
	global_load_dwordx4 v[114:117], v[68:69], off offset:1280
	v_add_co_u32_e32 v0, vcc, s2, v0
	v_addc_co_u32_e32 v1, vcc, v1, v80, vcc
	global_load_dwordx4 v[48:51], v[0:1], off
	global_load_dwordx4 v[110:113], v[64:65], off offset:928
	v_add_co_u32_e32 v0, vcc, s2, v0
	v_addc_co_u32_e32 v1, vcc, v1, v80, vcc
	v_add_co_u32_e32 v2, vcc, s2, v0
	v_addc_co_u32_e32 v3, vcc, v1, v80, vcc
	global_load_dwordx4 v[52:55], v[0:1], off
	global_load_dwordx4 v[106:109], v[66:67], off offset:576
	global_load_dwordx4 v[56:59], v[2:3], off
	v_add_co_u32_e32 v0, vcc, s1, v86
	v_mad_u64_u32 v[2:3], s[14:15], s12, v81, v[2:3]
	v_addc_co_u32_e32 v1, vcc, 0, v87, vcc
	v_add_u32_e32 v3, s0, v3
	global_load_dwordx4 v[60:63], v[2:3], off
	v_add_co_u32_e32 v2, vcc, s2, v2
	v_addc_co_u32_e32 v3, vcc, v3, v80, vcc
	global_load_dwordx4 v[68:71], v[2:3], off
	v_add_co_u32_e32 v2, vcc, s2, v2
	buffer_store_dword v86, off, s[36:39], 0 offset:600 ; 4-byte Folded Spill
	buffer_store_dword v87, off, s[36:39], 0 offset:604 ; 4-byte Folded Spill
	v_addc_co_u32_e32 v3, vcc, v3, v80, vcc
	global_load_dwordx4 v[84:87], v[0:1], off offset:224
	global_load_dwordx4 v[72:75], v[2:3], off
	global_load_dwordx4 v[98:101], v[66:67], off offset:1472
	v_add_co_u32_e32 v2, vcc, s2, v2
	v_addc_co_u32_e32 v3, vcc, v3, v80, vcc
	global_load_dwordx4 v[80:83], v[2:3], off
	global_load_dwordx4 v[102:105], v[0:1], off offset:1120
	s_nop 0
	buffer_store_dword v142, off, s[36:39], 0 offset:472 ; 4-byte Folded Spill
	s_nop 0
	buffer_store_dword v143, off, s[36:39], 0 offset:476 ; 4-byte Folded Spill
	buffer_store_dword v144, off, s[36:39], 0 offset:480 ; 4-byte Folded Spill
	;; [unrolled: 1-line block ×3, first 2 shown]
	s_mov_b64 s[0:1], 0x1ea
	v_cmp_gt_u64_e32 vcc, s[0:1], v[88:89]
	v_fma_f64 v[6:7], v[42:43], v[142:143], -v[6:7]
	ds_write_b128 v224, v[4:7] offset:26208
	s_waitcnt vmcnt(32)
	v_mul_f64 v[4:5], v[10:11], v[140:141]
	v_fmac_f64_e32 v[4:5], v[8:9], v[138:139]
	v_mul_f64 v[6:7], v[8:9], v[140:141]
	buffer_store_dword v138, off, s[36:39], 0 offset:344 ; 4-byte Folded Spill
	s_nop 0
	buffer_store_dword v139, off, s[36:39], 0 offset:348 ; 4-byte Folded Spill
	buffer_store_dword v140, off, s[36:39], 0 offset:352 ; 4-byte Folded Spill
	buffer_store_dword v141, off, s[36:39], 0 offset:356 ; 4-byte Folded Spill
	v_fma_f64 v[6:7], v[10:11], v[138:139], -v[6:7]
	ds_write_b128 v224, v[4:7] offset:3584
	s_waitcnt vmcnt(35)
	v_mul_f64 v[4:5], v[14:15], v[152:153]
	v_fmac_f64_e32 v[4:5], v[12:13], v[150:151]
	v_mul_f64 v[6:7], v[12:13], v[152:153]
	buffer_store_dword v150, off, s[36:39], 0 offset:328 ; 4-byte Folded Spill
	s_nop 0
	buffer_store_dword v151, off, s[36:39], 0 offset:332 ; 4-byte Folded Spill
	buffer_store_dword v152, off, s[36:39], 0 offset:336 ; 4-byte Folded Spill
	buffer_store_dword v153, off, s[36:39], 0 offset:340 ; 4-byte Folded Spill
	;; [unrolled: 11-line block ×12, first 2 shown]
	v_fma_f64 v[6:7], v[58:59], v[84:85], -v[6:7]
	ds_write_b128 v224, v[4:7] offset:28896
	v_mul_f64 v[4:5], v[62:63], v[92:93]
	v_fmac_f64_e32 v[4:5], v[60:61], v[90:91]
	v_mul_f64 v[6:7], v[60:61], v[92:93]
	buffer_store_dword v90, off, s[36:39], 0 offset:136 ; 4-byte Folded Spill
	s_nop 0
	buffer_store_dword v91, off, s[36:39], 0 offset:140 ; 4-byte Folded Spill
	buffer_store_dword v92, off, s[36:39], 0 offset:144 ; 4-byte Folded Spill
	;; [unrolled: 1-line block ×3, first 2 shown]
	v_fma_f64 v[6:7], v[62:63], v[90:91], -v[6:7]
	ds_write_b128 v224, v[4:7] offset:6272
	v_mul_f64 v[4:5], v[70:71], v[96:97]
	v_fmac_f64_e32 v[4:5], v[68:69], v[94:95]
	v_mul_f64 v[6:7], v[68:69], v[96:97]
	buffer_store_dword v94, off, s[36:39], 0 offset:120 ; 4-byte Folded Spill
	s_nop 0
	buffer_store_dword v95, off, s[36:39], 0 offset:124 ; 4-byte Folded Spill
	buffer_store_dword v96, off, s[36:39], 0 offset:128 ; 4-byte Folded Spill
	;; [unrolled: 1-line block ×3, first 2 shown]
	v_fma_f64 v[6:7], v[70:71], v[94:95], -v[6:7]
	ds_write_b128 v224, v[4:7] offset:14112
	s_waitcnt vmcnt(62)
	v_mul_f64 v[4:5], v[74:75], v[100:101]
	v_fmac_f64_e32 v[4:5], v[72:73], v[98:99]
	v_mul_f64 v[6:7], v[72:73], v[100:101]
	buffer_store_dword v98, off, s[36:39], 0 offset:104 ; 4-byte Folded Spill
	s_nop 0
	buffer_store_dword v99, off, s[36:39], 0 offset:108 ; 4-byte Folded Spill
	buffer_store_dword v100, off, s[36:39], 0 offset:112 ; 4-byte Folded Spill
	;; [unrolled: 1-line block ×3, first 2 shown]
	v_fma_f64 v[6:7], v[74:75], v[98:99], -v[6:7]
	ds_write_b128 v224, v[4:7] offset:21952
	s_waitcnt vmcnt(62)
	v_mul_f64 v[4:5], v[82:83], v[104:105]
	v_fmac_f64_e32 v[4:5], v[80:81], v[102:103]
	v_mul_f64 v[6:7], v[80:81], v[104:105]
	buffer_store_dword v102, off, s[36:39], 0 offset:88 ; 4-byte Folded Spill
	s_nop 0
	buffer_store_dword v103, off, s[36:39], 0 offset:92 ; 4-byte Folded Spill
	buffer_store_dword v104, off, s[36:39], 0 offset:96 ; 4-byte Folded Spill
	;; [unrolled: 1-line block ×3, first 2 shown]
	v_fma_f64 v[6:7], v[82:83], v[102:103], -v[6:7]
	ds_write_b128 v224, v[4:7] offset:29792
	v_lshlrev_b32_e32 v4, 4, v88
	buffer_store_dword v4, off, s[36:39], 0 ; 4-byte Folded Spill
	s_and_saveexec_b64 s[14:15], vcc
	s_cbranch_execz .LBB0_3
; %bb.2:
	v_accvgpr_read_b32 v8, a2
	v_mad_u64_u32 v[4:5], s[0:1], s12, v8, 0
	v_mov_b32_e32 v6, v5
	v_mad_u64_u32 v[6:7], s[0:1], s13, v8, v[6:7]
	v_mov_b32_e32 v5, v6
	v_lshlrev_b64 v[4:5], 4, v[4:5]
	v_add_co_u32_e64 v30, s[0:1], v78, v4
	v_mov_b32_e32 v4, 0xffffc640
	v_addc_co_u32_e64 v31, s[0:1], v79, v5, s[0:1]
	v_mad_u64_u32 v[10:11], s[0:1], s12, v4, v[2:3]
	s_mul_i32 s0, s13, 0xffffc640
	s_sub_i32 s0, s0, s12
	v_add_u32_e32 v11, s0, v11
	v_mov_b32_e32 v20, s3
	v_add_co_u32_e64 v18, s[0:1], s2, v10
	v_addc_co_u32_e64 v19, s[0:1], v11, v20, s[0:1]
	global_load_dwordx4 v[2:5], v[10:11], off
	global_load_dwordx4 v[6:9], v[64:65], off offset:2720
	s_nop 0
	global_load_dwordx4 v[10:13], v[18:19], off
	global_load_dwordx4 v[14:17], v[66:67], off offset:2368
	v_add_co_u32_e64 v18, s[0:1], s2, v18
	v_addc_co_u32_e64 v19, s[0:1], v19, v20, s[0:1]
	global_load_dwordx4 v[18:21], v[18:19], off
	s_nop 0
	global_load_dwordx4 v[22:25], v[0:1], off offset:2016
	s_nop 0
	buffer_load_dword v0, off, s[36:39], 0  ; 4-byte Folded Reload
	s_waitcnt vmcnt(0)
	global_load_dwordx4 v[26:29], v0, s[6:7]
	s_nop 0
	global_load_dwordx4 v[30:33], v[30:31], off
	v_mul_f64 v[0:1], v[4:5], v[8:9]
	v_mul_f64 v[8:9], v[2:3], v[8:9]
	v_fmac_f64_e32 v[0:1], v[2:3], v[6:7]
	v_fma_f64 v[2:3], v[4:5], v[6:7], -v[8:9]
	v_mul_f64 v[4:5], v[12:13], v[16:17]
	v_mul_f64 v[6:7], v[10:11], v[16:17]
	v_fmac_f64_e32 v[4:5], v[10:11], v[14:15]
	ds_write_b128 v224, v[0:3] offset:15008
	v_fma_f64 v[6:7], v[12:13], v[14:15], -v[6:7]
	v_mul_f64 v[0:1], v[20:21], v[24:25]
	v_mul_f64 v[2:3], v[18:19], v[24:25]
	ds_write_b128 v224, v[4:7] offset:22848
	v_fmac_f64_e32 v[0:1], v[18:19], v[22:23]
	v_fma_f64 v[2:3], v[20:21], v[22:23], -v[2:3]
	s_waitcnt vmcnt(0)
	v_mul_f64 v[8:9], v[32:33], v[28:29]
	v_mul_f64 v[10:11], v[30:31], v[28:29]
	v_fmac_f64_e32 v[8:9], v[30:31], v[26:27]
	v_fma_f64 v[10:11], v[32:33], v[26:27], -v[10:11]
	ds_write_b128 v224, v[8:11] offset:7168
	ds_write_b128 v224, v[0:3] offset:30688
.LBB0_3:
	s_or_b64 exec, exec, s[14:15]
	s_waitcnt lgkmcnt(0)
	; wave barrier
	s_waitcnt lgkmcnt(0)
	ds_read_b128 v[128:131], v224
	ds_read_b128 v[116:119], v224 offset:896
	ds_read_b128 v[132:135], v224 offset:7840
	;; [unrolled: 1-line block ×31, first 2 shown]
	s_load_dwordx2 s[12:13], s[4:5], 0x8
                                        ; implicit-def: $vgpr4_vgpr5
                                        ; implicit-def: $vgpr28_vgpr29
                                        ; implicit-def: $vgpr20_vgpr21
                                        ; implicit-def: $vgpr8_vgpr9
	s_and_saveexec_b64 s[0:1], vcc
	s_cbranch_execz .LBB0_5
; %bb.4:
	ds_read_b128 v[4:7], v224 offset:7168
	ds_read_b128 v[8:11], v224 offset:15008
	;; [unrolled: 1-line block ×4, first 2 shown]
.LBB0_5:
	s_or_b64 exec, exec, s[0:1]
	s_waitcnt lgkmcnt(0)
	v_add_f64 v[140:141], v[128:129], -v[140:141]
	v_add_f64 v[148:149], v[132:133], -v[136:137]
	v_fma_f64 v[144:145], v[128:129], 2.0, -v[140:141]
	v_fma_f64 v[128:129], v[132:133], 2.0, -v[148:149]
	v_add_f64 v[142:143], v[130:131], -v[142:143]
	v_add_f64 v[150:151], v[134:135], -v[138:139]
	;; [unrolled: 1-line block ×3, first 2 shown]
	v_fma_f64 v[146:147], v[130:131], 2.0, -v[142:143]
	v_fma_f64 v[130:131], v[134:135], 2.0, -v[150:151]
	;; [unrolled: 1-line block ×3, first 2 shown]
	v_add_f64 v[134:135], v[142:143], v[148:149]
	v_add_f64 v[126:127], v[118:119], -v[126:127]
	v_add_f64 v[144:145], v[112:113], -v[120:121]
	;; [unrolled: 1-line block ×4, first 2 shown]
	v_add_co_u32_e64 v174, s[0:1], 56, v244
	v_add_f64 v[120:121], v[114:115], -v[122:123]
	v_fma_f64 v[112:113], v[112:113], 2.0, -v[144:145]
	v_add_f64 v[122:123], v[126:127], v[144:145]
	v_fma_f64 v[144:145], v[96:97], 2.0, -v[108:109]
	v_fma_f64 v[96:97], v[100:101], 2.0, -v[148:149]
	s_movk_i32 s0, 0x70
	v_add_f64 v[110:111], v[98:99], -v[110:111]
	v_add_f64 v[96:97], v[144:145], -v[96:97]
	v_add_co_u32_e64 v171, s[0:1], s0, v244
	v_add_f64 v[104:105], v[102:103], -v[106:107]
	v_fma_f64 v[100:101], v[144:145], 2.0, -v[96:97]
	v_add_f64 v[106:107], v[110:111], v[148:149]
	v_add_f64 v[94:95], v[86:87], -v[94:95]
	v_add_f64 v[144:145], v[80:81], -v[88:89]
	;; [unrolled: 1-line block ×4, first 2 shown]
	s_movk_i32 s0, 0xa8
	v_add_f64 v[88:89], v[82:83], -v[90:91]
	v_fma_f64 v[80:81], v[80:81], 2.0, -v[144:145]
	v_add_f64 v[90:91], v[94:95], v[144:145]
	v_fma_f64 v[144:145], v[64:65], 2.0, -v[76:77]
	v_fma_f64 v[64:65], v[68:69], 2.0, -v[148:149]
	v_add_co_u32_e64 v170, s[0:1], s0, v244
	v_add_f64 v[78:79], v[66:67], -v[78:79]
	v_add_f64 v[64:65], v[144:145], -v[64:65]
	s_movk_i32 s0, 0xe0
	v_add_f64 v[72:73], v[70:71], -v[74:75]
	v_fma_f64 v[68:69], v[144:145], 2.0, -v[64:65]
	v_add_f64 v[74:75], v[78:79], v[148:149]
	v_add_f64 v[62:63], v[54:55], -v[62:63]
	v_add_f64 v[144:145], v[48:49], -v[56:57]
	;; [unrolled: 1-line block ×6, first 2 shown]
	v_add_co_u32_e64 v169, s[0:1], s0, v244
	v_add_f64 v[130:131], v[146:147], -v[130:131]
	v_add_f64 v[124:125], v[116:117], -v[124:125]
	;; [unrolled: 1-line block ×3, first 2 shown]
	v_fma_f64 v[48:49], v[48:49], 2.0, -v[144:145]
	v_add_f64 v[58:59], v[62:63], v[144:145]
	v_fma_f64 v[144:145], v[32:33], 2.0, -v[44:45]
	v_fma_f64 v[32:33], v[36:37], 2.0, -v[148:149]
	;; [unrolled: 1-line block ×4, first 2 shown]
	s_movk_i32 s0, 0x118
	v_fma_f64 v[138:139], v[146:147], 2.0, -v[130:131]
	v_fma_f64 v[116:117], v[116:117], 2.0, -v[124:125]
	;; [unrolled: 1-line block ×6, first 2 shown]
	v_add_f64 v[32:33], v[144:145], -v[32:33]
	v_add_f64 v[24:25], v[12:13], -v[0:1]
	v_add_co_u32_e64 v220, s[0:1], s0, v244
	v_add_f64 v[132:133], v[140:141], -v[150:151]
	v_add_f64 v[112:113], v[116:117], -v[112:113]
	;; [unrolled: 1-line block ×5, first 2 shown]
	v_fma_f64 v[36:37], v[144:145], 2.0, -v[32:33]
	v_fma_f64 v[144:145], v[12:13], 2.0, -v[24:25]
	v_add_f64 v[12:13], v[4:5], -v[20:21]
	v_lshlrev_b32_e32 v20, 6, v244
	s_movk_i32 s0, 0x150
	v_fma_f64 v[140:141], v[140:141], 2.0, -v[132:133]
	v_fma_f64 v[142:143], v[142:143], 2.0, -v[134:135]
	;; [unrolled: 1-line block ×4, first 2 shown]
	v_add_f64 v[120:121], v[124:125], -v[120:121]
	v_fma_f64 v[102:103], v[146:147], 2.0, -v[98:99]
	v_fma_f64 v[84:85], v[84:85], 2.0, -v[92:93]
	;; [unrolled: 1-line block ×6, first 2 shown]
	v_add_f64 v[60:61], v[52:53], -v[60:61]
	s_waitcnt lgkmcnt(0)
	; wave barrier
	ds_write_b128 v20, v[136:139]
	ds_write_b128 v20, v[140:143] offset:16
	ds_write_b128 v20, v[128:131] offset:32
	buffer_store_dword v20, off, s[36:39], 0 offset:8 ; 4-byte Folded Spill
	ds_write_b128 v20, v[132:135] offset:48
	v_lshlrev_b32_e32 v20, 6, v174
	v_add_co_u32_e64 v218, s[0:1], s0, v244
	v_fma_f64 v[124:125], v[124:125], 2.0, -v[120:121]
	v_fma_f64 v[126:127], v[126:127], 2.0, -v[122:123]
	v_add_f64 v[104:105], v[108:109], -v[104:105]
	v_add_f64 v[80:81], v[84:85], -v[80:81]
	;; [unrolled: 1-line block ×4, first 2 shown]
	v_fma_f64 v[52:53], v[52:53], 2.0, -v[60:61]
	v_fma_f64 v[54:55], v[54:55], 2.0, -v[62:63]
	;; [unrolled: 1-line block ×3, first 2 shown]
	v_add_f64 v[46:47], v[34:35], -v[46:47]
	v_add_f64 v[40:41], v[38:39], -v[42:43]
	;; [unrolled: 1-line block ×4, first 2 shown]
	ds_write_b128 v20, v[116:119]
	ds_write_b128 v20, v[124:127] offset:16
	ds_write_b128 v20, v[112:115] offset:32
	buffer_store_dword v20, off, s[36:39], 0 offset:12 ; 4-byte Folded Spill
	ds_write_b128 v20, v[120:123] offset:48
	v_lshlrev_b32_e32 v20, 6, v171
	s_movk_i32 s0, 0x188
	v_fma_f64 v[108:109], v[108:109], 2.0, -v[104:105]
	v_fma_f64 v[110:111], v[110:111], 2.0, -v[106:107]
	;; [unrolled: 1-line block ×4, first 2 shown]
	v_add_f64 v[88:89], v[92:93], -v[88:89]
	v_fma_f64 v[70:71], v[146:147], 2.0, -v[66:67]
	v_add_f64 v[48:49], v[52:53], -v[48:49]
	v_add_f64 v[50:51], v[54:55], -v[50:51]
	v_fma_f64 v[146:147], v[34:35], 2.0, -v[46:47]
	v_fma_f64 v[34:35], v[38:39], 2.0, -v[40:41]
	;; [unrolled: 1-line block ×4, first 2 shown]
	ds_write_b128 v20, v[100:103]
	ds_write_b128 v20, v[108:111] offset:16
	ds_write_b128 v20, v[96:99] offset:32
	buffer_store_dword v20, off, s[36:39], 0 offset:16 ; 4-byte Folded Spill
	ds_write_b128 v20, v[104:107] offset:48
	v_lshlrev_b32_e32 v20, 6, v170
	v_add_co_u32_e64 v168, s[0:1], s0, v244
	v_fma_f64 v[92:93], v[92:93], 2.0, -v[88:89]
	v_fma_f64 v[94:95], v[94:95], 2.0, -v[90:91]
	v_add_f64 v[72:73], v[76:77], -v[72:73]
	v_fma_f64 v[52:53], v[52:53], 2.0, -v[48:49]
	v_fma_f64 v[54:55], v[54:55], 2.0, -v[50:51]
	v_add_f64 v[56:57], v[60:61], -v[56:57]
	v_add_f64 v[34:35], v[146:147], -v[34:35]
	;; [unrolled: 1-line block ×3, first 2 shown]
	ds_write_b128 v20, v[84:87]
	ds_write_b128 v20, v[92:95] offset:16
	ds_write_b128 v20, v[80:83] offset:32
	buffer_store_dword v20, off, s[36:39], 0 offset:20 ; 4-byte Folded Spill
	ds_write_b128 v20, v[88:91] offset:48
	v_lshlrev_b32_e32 v0, 6, v169
	v_lshlrev_b32_e32 v20, 6, v220
	v_fma_f64 v[76:77], v[76:77], 2.0, -v[72:73]
	v_fma_f64 v[78:79], v[78:79], 2.0, -v[74:75]
	;; [unrolled: 1-line block ×5, first 2 shown]
	v_add_f64 v[40:41], v[44:45], -v[40:41]
	v_add_f64 v[42:43], v[46:47], v[148:149]
	v_fma_f64 v[146:147], v[14:15], 2.0, -v[26:27]
	v_add_f64 v[148:149], v[152:153], -v[18:19]
	v_add_f64 v[150:151], v[154:155], v[16:17]
	ds_write_b128 v0, v[68:71]
	ds_write_b128 v0, v[76:79] offset:16
	ds_write_b128 v0, v[64:67] offset:32
	v_accvgpr_write_b32 a14, v0
	ds_write_b128 v0, v[72:75] offset:48
	ds_write_b128 v20, v[52:55]
	ds_write_b128 v20, v[60:63] offset:16
	ds_write_b128 v20, v[48:51] offset:32
	buffer_store_dword v20, off, s[36:39], 0 offset:24 ; 4-byte Folded Spill
	ds_write_b128 v20, v[56:59] offset:48
	v_lshlrev_b32_e32 v0, 6, v218
	v_lshlrev_b32_e32 v20, 6, v168
	v_fma_f64 v[44:45], v[44:45], 2.0, -v[40:41]
	v_fma_f64 v[46:47], v[46:47], 2.0, -v[42:43]
	;; [unrolled: 1-line block ×4, first 2 shown]
	v_add_f64 v[16:17], v[6:7], -v[22:23]
	v_add_f64 v[14:15], v[8:9], -v[28:29]
	;; [unrolled: 1-line block ×3, first 2 shown]
	ds_write_b128 v0, v[36:39]
	ds_write_b128 v0, v[44:47] offset:16
	ds_write_b128 v0, v[32:35] offset:32
	;; [unrolled: 1-line block ×3, first 2 shown]
	ds_write_b128 v20, v[144:147]
	ds_write_b128 v20, v[152:155] offset:16
	ds_write_b128 v20, v[24:27] offset:32
	buffer_store_dword v20, off, s[36:39], 0 offset:28 ; 4-byte Folded Spill
	ds_write_b128 v20, v[148:151] offset:48
	v_accvgpr_read_b32 v20, a2
	v_add_f64 v[234:235], v[12:13], -v[18:19]
	v_add_f64 v[236:237], v[16:17], v[14:15]
	v_accvgpr_write_b32 a4, v0
	v_lshlrev_b32_e32 v0, 6, v20
	buffer_store_dword v0, off, s[36:39], 0 offset:4 ; 4-byte Folded Spill
	s_and_saveexec_b64 s[0:1], vcc
	s_cbranch_execz .LBB0_7
; %bb.6:
	v_fma_f64 v[20:21], v[12:13], 2.0, -v[234:235]
	v_fma_f64 v[12:13], v[4:5], 2.0, -v[12:13]
	;; [unrolled: 1-line block ×3, first 2 shown]
	v_add_f64 v[4:5], v[12:13], -v[4:5]
	v_fma_f64 v[8:9], v[12:13], 2.0, -v[4:5]
	buffer_load_dword v12, off, s[36:39], 0 offset:4 ; 4-byte Folded Reload
	v_fma_f64 v[22:23], v[16:17], 2.0, -v[236:237]
	v_fma_f64 v[16:17], v[6:7], 2.0, -v[16:17]
	v_fma_f64 v[6:7], v[10:11], 2.0, -v[18:19]
	v_add_f64 v[6:7], v[16:17], -v[6:7]
	v_fma_f64 v[10:11], v[16:17], 2.0, -v[6:7]
	s_waitcnt vmcnt(0)
	ds_write_b128 v12, v[8:11]
	ds_write_b128 v12, v[20:23] offset:16
	ds_write_b128 v12, v[4:7] offset:32
	ds_write_b128 v12, v[234:237] offset:48
.LBB0_7:
	s_or_b64 exec, exec, s[0:1]
	v_lshlrev_b32_e32 v0, 2, v244
	v_accvgpr_write_b32 a18, v0
	v_lshlrev_b32_e32 v0, 2, v174
	v_accvgpr_write_b32 a17, v0
	v_lshlrev_b32_e32 v0, 2, v171
	v_and_b32_e32 v175, 3, v244
	v_accvgpr_write_b32 a16, v0
	v_lshlrev_b32_e32 v0, 2, v170
	v_mul_u32_u24_e32 v128, 6, v175
	v_accvgpr_write_b32 a15, v0
	v_lshlrev_b32_e32 v0, 2, v220
	v_lshlrev_b32_e32 v162, 4, v128
	v_accvgpr_write_b32 a75, v0
	s_waitcnt lgkmcnt(0)
	; wave barrier
	s_waitcnt lgkmcnt(0)
	ds_read_b128 v[20:23], v224
	ds_read_b128 v[156:159], v224 offset:4480
	ds_read_b128 v[152:155], v224 offset:8960
	;; [unrolled: 1-line block ×34, first 2 shown]
	global_load_dwordx4 v[0:3], v162, s[12:13] offset:48
	global_load_dwordx4 v[128:131], v162, s[12:13] offset:32
	;; [unrolled: 1-line block ×3, first 2 shown]
	global_load_dwordx4 v[144:147], v162, s[12:13]
	s_mov_b32 s2, 0x37e14327
	s_mov_b32 s0, 0x36b3c0b5
	;; [unrolled: 1-line block ×20, first 2 shown]
	s_waitcnt vmcnt(3) lgkmcnt(14)
	v_mul_f64 v[192:193], v[140:141], v[2:3]
	s_waitcnt vmcnt(2)
	v_mul_f64 v[186:187], v[148:149], v[130:131]
	s_waitcnt vmcnt(1)
	;; [unrolled: 2-line block ×3, first 2 shown]
	v_mul_f64 v[160:161], v[158:159], v[146:147]
	v_fma_f64 v[176:177], v[156:157], v[144:145], -v[160:161]
	v_mul_f64 v[178:179], v[156:157], v[146:147]
	v_mul_f64 v[156:157], v[154:155], v[134:135]
	v_fma_f64 v[180:181], v[152:153], v[132:133], -v[156:157]
	v_mul_f64 v[152:153], v[150:151], v[130:131]
	v_fma_f64 v[184:185], v[148:149], v[128:129], -v[152:153]
	v_mul_f64 v[148:149], v[142:143], v[2:3]
	v_fmac_f64_e32 v[186:187], v[150:151], v[128:129]
	v_fma_f64 v[190:191], v[140:141], v[0:1], -v[148:149]
	v_fmac_f64_e32 v[192:193], v[142:143], v[0:1]
	global_load_dwordx4 v[140:143], v162, s[12:13] offset:80
	global_load_dwordx4 v[148:151], v162, s[12:13] offset:64
	v_mul_f64 v[196:197], v[116:117], v[146:147]
	v_mul_f64 v[200:201], v[112:113], v[134:135]
	;; [unrolled: 1-line block ×4, first 2 shown]
	v_fmac_f64_e32 v[208:209], v[106:107], v[0:1]
	v_fmac_f64_e32 v[204:205], v[110:111], v[128:129]
	;; [unrolled: 1-line block ×5, first 2 shown]
	s_waitcnt lgkmcnt(3)
	v_mul_f64 v[154:155], v[36:37], v[130:131]
	v_fmac_f64_e32 v[178:179], v[158:159], v[144:145]
	s_waitcnt lgkmcnt(2)
	v_mul_f64 v[158:159], v[32:33], v[2:3]
	v_fmac_f64_e32 v[158:159], v[34:35], v[0:1]
	v_fmac_f64_e32 v[154:155], v[38:39], v[128:129]
	s_waitcnt lgkmcnt(0)
	; wave barrier
	s_waitcnt lgkmcnt(0)
	v_accvgpr_write_b32 a22, v132
	v_accvgpr_write_b32 a223, v131
	;; [unrolled: 1-line block ×12, first 2 shown]
	s_waitcnt vmcnt(1)
	v_mul_f64 v[232:233], v[120:121], v[142:143]
	s_waitcnt vmcnt(0)
	v_mul_f64 v[152:153], v[126:127], v[150:151]
	v_fma_f64 v[226:227], v[124:125], v[148:149], -v[152:153]
	v_mul_f64 v[228:229], v[124:125], v[150:151]
	v_mul_f64 v[124:125], v[122:123], v[142:143]
	v_fma_f64 v[230:231], v[120:121], v[140:141], -v[124:125]
	v_mul_f64 v[120:121], v[118:119], v[146:147]
	v_fma_f64 v[194:195], v[116:117], v[144:145], -v[120:121]
	v_mul_f64 v[116:117], v[114:115], v[134:135]
	v_fma_f64 v[198:199], v[112:113], v[132:133], -v[116:117]
	v_mul_f64 v[112:113], v[110:111], v[130:131]
	v_fma_f64 v[202:203], v[108:109], v[128:129], -v[112:113]
	v_mul_f64 v[108:109], v[106:107], v[2:3]
	v_fma_f64 v[206:207], v[104:105], v[0:1], -v[108:109]
	v_mul_f64 v[104:105], v[102:103], v[150:151]
	v_fma_f64 v[210:211], v[100:101], v[148:149], -v[104:105]
	v_mul_f64 v[212:213], v[100:101], v[150:151]
	v_mul_f64 v[100:101], v[98:99], v[142:143]
	v_fma_f64 v[214:215], v[96:97], v[140:141], -v[100:101]
	v_mul_f64 v[216:217], v[96:97], v[142:143]
	v_mul_f64 v[96:97], v[94:95], v[146:147]
	v_fma_f64 v[188:189], v[92:93], v[144:145], -v[96:97]
	v_mul_f64 v[92:93], v[92:93], v[146:147]
	v_fmac_f64_e32 v[92:93], v[94:95], v[144:145]
	v_mul_f64 v[94:95], v[90:91], v[134:135]
	v_fma_f64 v[94:95], v[88:89], v[132:133], -v[94:95]
	v_mul_f64 v[88:89], v[88:89], v[134:135]
	v_fmac_f64_e32 v[88:89], v[90:91], v[132:133]
	;; [unrolled: 4-line block ×6, first 2 shown]
	v_mul_f64 v[74:75], v[70:71], v[146:147]
	v_fmac_f64_e32 v[216:217], v[98:99], v[140:141]
	v_fma_f64 v[96:97], v[68:69], v[144:145], -v[74:75]
	v_mul_f64 v[98:99], v[68:69], v[146:147]
	v_mul_f64 v[68:69], v[66:67], v[134:135]
	v_fmac_f64_e32 v[212:213], v[102:103], v[148:149]
	v_fma_f64 v[100:101], v[64:65], v[132:133], -v[68:69]
	v_mul_f64 v[102:103], v[64:65], v[134:135]
	v_mul_f64 v[64:65], v[62:63], v[130:131]
	v_fma_f64 v[104:105], v[60:61], v[128:129], -v[64:65]
	v_mul_f64 v[106:107], v[60:61], v[130:131]
	v_mul_f64 v[60:61], v[58:59], v[2:3]
	;; [unrolled: 3-line block ×5, first 2 shown]
	v_fmac_f64_e32 v[232:233], v[122:123], v[140:141]
	v_fma_f64 v[120:121], v[44:45], v[144:145], -v[48:49]
	v_mul_f64 v[122:123], v[44:45], v[146:147]
	v_mul_f64 v[44:45], v[42:43], v[134:135]
	v_fmac_f64_e32 v[228:229], v[126:127], v[148:149]
	v_fma_f64 v[124:125], v[40:41], v[132:133], -v[44:45]
	v_mul_f64 v[126:127], v[40:41], v[134:135]
	v_mul_f64 v[40:41], v[38:39], v[130:131]
	v_fma_f64 v[152:153], v[36:37], v[128:129], -v[40:41]
	v_mul_f64 v[36:37], v[34:35], v[2:3]
	v_fma_f64 v[156:157], v[32:33], v[0:1], -v[36:37]
	;; [unrolled: 2-line block ×3, first 2 shown]
	v_mul_f64 v[162:163], v[28:29], v[150:151]
	v_mul_f64 v[28:29], v[26:27], v[142:143]
	v_fma_f64 v[164:165], v[24:25], v[140:141], -v[28:29]
	v_mul_f64 v[166:167], v[24:25], v[142:143]
	v_add_f64 v[24:25], v[176:177], v[230:231]
	v_add_f64 v[32:33], v[180:181], v[226:227]
	v_fmac_f64_e32 v[166:167], v[26:27], v[140:141]
	v_add_f64 v[26:27], v[178:179], v[232:233]
	v_add_f64 v[34:35], v[182:183], v[228:229]
	v_add_f64 v[40:41], v[184:185], v[190:191]
	v_add_f64 v[48:49], v[32:33], v[24:25]
	v_fmac_f64_e32 v[118:119], v[50:51], v[140:141]
	v_fmac_f64_e32 v[126:127], v[42:43], v[132:133]
	v_add_f64 v[42:43], v[186:187], v[192:193]
	v_add_f64 v[50:51], v[34:35], v[26:27]
	v_add_f64 v[52:53], v[32:33], -v[24:25]
	v_add_f64 v[24:25], v[24:25], -v[40:41]
	;; [unrolled: 1-line block ×3, first 2 shown]
	v_add_f64 v[40:41], v[40:41], v[48:49]
	v_fmac_f64_e32 v[114:115], v[54:55], v[148:149]
	v_fmac_f64_e32 v[122:123], v[46:47], v[144:145]
	;; [unrolled: 1-line block ×3, first 2 shown]
	v_add_f64 v[30:31], v[178:179], -v[232:233]
	v_add_f64 v[36:37], v[180:181], -v[226:227]
	;; [unrolled: 1-line block ×8, first 2 shown]
	v_add_f64 v[42:43], v[42:43], v[50:51]
	v_add_f64 v[20:21], v[20:21], v[40:41]
	v_fmac_f64_e32 v[106:107], v[62:63], v[128:129]
	v_fmac_f64_e32 v[110:111], v[58:59], v[0:1]
	v_add_f64 v[28:29], v[176:177], -v[230:231]
	v_add_f64 v[56:57], v[44:45], v[36:37]
	v_add_f64 v[58:59], v[46:47], v[38:39]
	v_add_f64 v[60:61], v[44:45], -v[36:37]
	v_add_f64 v[62:63], v[46:47], -v[38:39]
	;; [unrolled: 1-line block ×3, first 2 shown]
	v_add_f64 v[22:23], v[22:23], v[42:43]
	v_pk_mov_b32 v[64:65], v[20:21], v[20:21] op_sel:[0,1]
	v_add_f64 v[44:45], v[28:29], -v[44:45]
	v_add_f64 v[46:47], v[30:31], -v[46:47]
	;; [unrolled: 1-line block ×3, first 2 shown]
	v_add_f64 v[28:29], v[56:57], v[28:29]
	v_add_f64 v[30:31], v[58:59], v[30:31]
	v_mul_f64 v[24:25], v[24:25], s[2:3]
	v_mul_f64 v[26:27], v[26:27], s[2:3]
	;; [unrolled: 1-line block ×7, first 2 shown]
	v_fmac_f64_e32 v[64:65], s[18:19], v[40:41]
	v_pk_mov_b32 v[40:41], v[22:23], v[22:23] op_sel:[0,1]
	v_mul_f64 v[60:61], v[36:37], s[4:5]
	v_fmac_f64_e32 v[40:41], s[18:19], v[42:43]
	v_fma_f64 v[42:43], v[52:53], s[20:21], -v[48:49]
	v_fma_f64 v[48:49], v[54:55], s[20:21], -v[50:51]
	;; [unrolled: 1-line block ×3, first 2 shown]
	v_fmac_f64_e32 v[24:25], s[0:1], v[32:33]
	v_fma_f64 v[32:33], v[54:55], s[22:23], -v[26:27]
	v_fmac_f64_e32 v[26:27], s[0:1], v[34:35]
	v_fma_f64 v[52:53], v[36:37], s[4:5], -v[56:57]
	v_fmac_f64_e32 v[56:57], s[24:25], v[44:45]
	v_fma_f64 v[36:37], v[38:39], s[4:5], -v[58:59]
	v_fmac_f64_e32 v[58:59], s[24:25], v[46:47]
	v_fma_f64 v[46:47], v[46:47], s[28:29], -v[62:63]
	v_fma_f64 v[44:45], v[44:45], s[28:29], -v[60:61]
	v_add_f64 v[60:61], v[26:27], v[40:41]
	v_add_f64 v[38:39], v[42:43], v[64:65]
	;; [unrolled: 1-line block ×4, first 2 shown]
	v_fmac_f64_e32 v[56:57], s[26:27], v[28:29]
	v_fmac_f64_e32 v[46:47], s[26:27], v[30:31]
	v_add_f64 v[54:55], v[24:25], v[64:65]
	v_add_f64 v[50:51], v[32:33], v[40:41]
	v_fmac_f64_e32 v[58:59], s[26:27], v[30:31]
	v_fmac_f64_e32 v[52:53], s[26:27], v[28:29]
	;; [unrolled: 1-line block ×4, first 2 shown]
	v_add_f64 v[26:27], v[60:61], -v[56:57]
	v_add_f64 v[28:29], v[46:47], v[48:49]
	v_add_f64 v[40:41], v[48:49], -v[46:47]
	v_add_f64 v[46:47], v[56:57], v[60:61]
	v_add_f64 v[48:49], v[194:195], v[214:215]
	;; [unrolled: 1-line block ×4, first 2 shown]
	v_add_f64 v[30:31], v[50:51], -v[44:45]
	v_add_f64 v[32:33], v[38:39], -v[36:37]
	v_add_f64 v[34:35], v[52:53], v[42:43]
	v_add_f64 v[36:37], v[36:37], v[38:39]
	v_add_f64 v[38:39], v[42:43], -v[52:53]
	v_add_f64 v[42:43], v[44:45], v[50:51]
	v_add_f64 v[44:45], v[54:55], -v[58:59]
	v_add_f64 v[50:51], v[196:197], v[216:217]
	v_add_f64 v[58:59], v[200:201], v[212:213]
	;; [unrolled: 1-line block ×4, first 2 shown]
	v_fmac_f64_e32 v[102:103], v[66:67], v[132:133]
	v_add_f64 v[66:67], v[204:205], v[208:209]
	v_add_f64 v[176:177], v[58:59], v[50:51]
	v_add_f64 v[178:179], v[56:57], -v[48:49]
	v_add_f64 v[48:49], v[48:49], -v[64:65]
	;; [unrolled: 1-line block ×3, first 2 shown]
	v_add_f64 v[64:65], v[64:65], v[74:75]
	v_fmac_f64_e32 v[98:99], v[70:71], v[144:145]
	v_add_f64 v[52:53], v[194:195], -v[214:215]
	v_add_f64 v[54:55], v[196:197], -v[216:217]
	v_add_f64 v[60:61], v[198:199], -v[210:211]
	v_add_f64 v[62:63], v[200:201], -v[212:213]
	v_add_f64 v[68:69], v[206:207], -v[202:203]
	v_add_f64 v[70:71], v[208:209], -v[204:205]
	v_add_f64 v[180:181], v[58:59], -v[50:51]
	v_add_f64 v[50:51], v[50:51], -v[66:67]
	v_add_f64 v[58:59], v[66:67], -v[58:59]
	v_add_f64 v[66:67], v[66:67], v[176:177]
	v_add_f64 v[16:17], v[16:17], v[64:65]
	;; [unrolled: 1-line block ×4, first 2 shown]
	v_add_f64 v[186:187], v[68:69], -v[60:61]
	v_add_f64 v[190:191], v[70:71], -v[62:63]
	;; [unrolled: 1-line block ×4, first 2 shown]
	v_add_f64 v[18:19], v[18:19], v[66:67]
	v_pk_mov_b32 v[192:193], v[16:17], v[16:17] op_sel:[0,1]
	v_add_f64 v[68:69], v[52:53], -v[68:69]
	v_add_f64 v[70:71], v[54:55], -v[70:71]
	v_add_f64 v[52:53], v[182:183], v[52:53]
	v_add_f64 v[54:55], v[184:185], v[54:55]
	v_mul_f64 v[48:49], v[48:49], s[2:3]
	v_mul_f64 v[50:51], v[50:51], s[2:3]
	;; [unrolled: 1-line block ×8, first 2 shown]
	v_fmac_f64_e32 v[192:193], s[18:19], v[64:65]
	v_pk_mov_b32 v[64:65], v[18:19], v[18:19] op_sel:[0,1]
	v_fmac_f64_e32 v[64:65], s[18:19], v[66:67]
	v_fma_f64 v[66:67], v[178:179], s[20:21], -v[74:75]
	v_fma_f64 v[74:75], v[180:181], s[20:21], -v[176:177]
	;; [unrolled: 1-line block ×3, first 2 shown]
	v_fmac_f64_e32 v[48:49], s[0:1], v[56:57]
	v_fma_f64 v[56:57], v[180:181], s[22:23], -v[50:51]
	v_fma_f64 v[178:179], v[60:61], s[4:5], -v[182:183]
	v_fmac_f64_e32 v[182:183], s[24:25], v[68:69]
	v_fma_f64 v[60:61], v[62:63], s[4:5], -v[184:185]
	v_fmac_f64_e32 v[184:185], s[24:25], v[70:71]
	v_fma_f64 v[68:69], v[68:69], s[28:29], -v[186:187]
	v_fma_f64 v[70:71], v[70:71], s[28:29], -v[190:191]
	v_fmac_f64_e32 v[50:51], s[0:1], v[58:59]
	v_add_f64 v[62:63], v[66:67], v[192:193]
	v_add_f64 v[66:67], v[74:75], v[64:65]
	;; [unrolled: 1-line block ×4, first 2 shown]
	v_fmac_f64_e32 v[178:179], s[26:27], v[52:53]
	v_fmac_f64_e32 v[60:61], s[26:27], v[54:55]
	;; [unrolled: 1-line block ×4, first 2 shown]
	v_add_f64 v[186:187], v[50:51], v[64:65]
	v_fmac_f64_e32 v[182:183], s[26:27], v[52:53]
	v_fmac_f64_e32 v[184:185], s[26:27], v[54:55]
	v_add_f64 v[52:53], v[70:71], v[74:75]
	v_add_f64 v[54:55], v[176:177], -v[68:69]
	v_add_f64 v[56:57], v[62:63], -v[60:61]
	v_add_f64 v[58:59], v[178:179], v[66:67]
	v_add_f64 v[60:61], v[60:61], v[62:63]
	v_add_f64 v[62:63], v[66:67], -v[178:179]
	v_add_f64 v[64:65], v[74:75], -v[70:71]
	v_add_f64 v[66:67], v[68:69], v[176:177]
	v_add_f64 v[74:75], v[188:189], v[78:79]
	;; [unrolled: 1-line block ×3, first 2 shown]
	v_add_f64 v[72:73], v[92:93], -v[72:73]
	v_add_f64 v[92:93], v[94:95], v[82:83]
	v_add_f64 v[178:179], v[88:89], v[76:77]
	v_add_f64 v[82:83], v[94:95], -v[82:83]
	v_add_f64 v[76:77], v[88:89], -v[76:77]
	v_add_f64 v[88:89], v[90:91], v[86:87]
	v_add_f64 v[94:95], v[84:85], v[80:81]
	v_add_f64 v[80:81], v[80:81], -v[84:85]
	v_add_f64 v[84:85], v[92:93], v[74:75]
	v_add_f64 v[180:181], v[48:49], v[192:193]
	;; [unrolled: 3-line block ×3, first 2 shown]
	v_add_f64 v[48:49], v[184:185], v[180:181]
	v_add_f64 v[68:69], v[180:181], -v[184:185]
	v_add_f64 v[180:181], v[92:93], -v[74:75]
	;; [unrolled: 1-line block ×4, first 2 shown]
	v_add_f64 v[88:89], v[94:95], v[90:91]
	v_add_f64 v[12:13], v[12:13], v[84:85]
	v_add_f64 v[50:51], v[186:187], -v[182:183]
	v_add_f64 v[70:71], v[182:183], v[186:187]
	v_add_f64 v[78:79], v[188:189], -v[78:79]
	v_add_f64 v[182:183], v[178:179], -v[176:177]
	;; [unrolled: 1-line block ×4, first 2 shown]
	v_add_f64 v[184:185], v[86:87], v[82:83]
	v_add_f64 v[186:187], v[80:81], v[76:77]
	v_add_f64 v[188:189], v[86:87], -v[82:83]
	v_add_f64 v[190:191], v[80:81], -v[76:77]
	v_add_f64 v[14:15], v[14:15], v[88:89]
	v_pk_mov_b32 v[192:193], v[12:13], v[12:13] op_sel:[0,1]
	v_add_f64 v[86:87], v[78:79], -v[86:87]
	v_add_f64 v[80:81], v[72:73], -v[80:81]
	;; [unrolled: 1-line block ×4, first 2 shown]
	v_add_f64 v[78:79], v[184:185], v[78:79]
	v_add_f64 v[72:73], v[186:187], v[72:73]
	v_mul_f64 v[74:75], v[74:75], s[2:3]
	v_mul_f64 v[90:91], v[176:177], s[2:3]
	v_mul_f64 v[94:95], v[92:93], s[0:1]
	v_mul_f64 v[176:177], v[178:179], s[0:1]
	v_mul_f64 v[184:185], v[188:189], s[14:15]
	v_mul_f64 v[186:187], v[190:191], s[14:15]
	v_fmac_f64_e32 v[192:193], s[18:19], v[84:85]
	v_pk_mov_b32 v[84:85], v[14:15], v[14:15] op_sel:[0,1]
	v_mul_f64 v[188:189], v[82:83], s[4:5]
	v_fmac_f64_e32 v[84:85], s[18:19], v[88:89]
	v_fma_f64 v[88:89], v[180:181], s[20:21], -v[94:95]
	v_fma_f64 v[94:95], v[182:183], s[20:21], -v[176:177]
	;; [unrolled: 1-line block ×3, first 2 shown]
	v_fmac_f64_e32 v[74:75], s[0:1], v[92:93]
	v_fma_f64 v[92:93], v[182:183], s[22:23], -v[90:91]
	v_fmac_f64_e32 v[90:91], s[0:1], v[178:179]
	v_fma_f64 v[178:179], v[82:83], s[4:5], -v[184:185]
	v_fma_f64 v[180:181], v[76:77], s[4:5], -v[186:187]
	v_mul_f64 v[190:191], v[76:77], s[4:5]
	v_fmac_f64_e32 v[184:185], s[24:25], v[86:87]
	v_fma_f64 v[182:183], v[86:87], s[28:29], -v[188:189]
	v_add_f64 v[194:195], v[90:91], v[84:85]
	v_add_f64 v[86:87], v[88:89], v[192:193]
	;; [unrolled: 1-line block ×4, first 2 shown]
	v_fmac_f64_e32 v[178:179], s[26:27], v[78:79]
	v_fmac_f64_e32 v[180:181], s[26:27], v[72:73]
	v_add_f64 v[176:177], v[96:97], v[116:117]
	v_add_f64 v[96:97], v[96:97], -v[116:117]
	v_add_f64 v[116:117], v[100:101], v[112:113]
	v_fmac_f64_e32 v[186:187], s[24:25], v[80:81]
	v_fma_f64 v[188:189], v[80:81], s[28:29], -v[190:191]
	v_add_f64 v[92:93], v[92:93], v[84:85]
	v_add_f64 v[80:81], v[86:87], -v[180:181]
	v_add_f64 v[82:83], v[178:179], v[88:89]
	v_add_f64 v[84:85], v[180:181], v[86:87]
	v_add_f64 v[86:87], v[88:89], -v[178:179]
	v_add_f64 v[178:179], v[98:99], v[118:119]
	v_add_f64 v[98:99], v[98:99], -v[118:119]
	;; [unrolled: 2-line block ×6, first 2 shown]
	v_add_f64 v[110:111], v[118:119], v[178:179]
	v_add_f64 v[108:109], v[112:113], v[108:109]
	v_fmac_f64_e32 v[182:183], s[26:27], v[78:79]
	v_fmac_f64_e32 v[188:189], s[26:27], v[72:73]
	v_add_f64 v[110:111], v[114:115], v[110:111]
	v_add_f64 v[8:9], v[8:9], v[108:109]
	;; [unrolled: 1-line block ×3, first 2 shown]
	v_fmac_f64_e32 v[184:185], s[26:27], v[78:79]
	v_fmac_f64_e32 v[186:187], s[26:27], v[72:73]
	v_add_f64 v[76:77], v[188:189], v[90:91]
	v_add_f64 v[78:79], v[92:93], -v[182:183]
	v_add_f64 v[88:89], v[90:91], -v[188:189]
	v_add_f64 v[90:91], v[182:183], v[92:93]
	v_add_f64 v[180:181], v[116:117], -v[176:177]
	v_add_f64 v[182:183], v[118:119], -v[178:179]
	;; [unrolled: 1-line block ×6, first 2 shown]
	v_add_f64 v[10:11], v[10:11], v[110:111]
	v_pk_mov_b32 v[192:193], v[8:9], v[8:9] op_sel:[0,1]
	v_add_f64 v[72:73], v[186:187], v[190:191]
	v_add_f64 v[74:75], v[194:195], -v[184:185]
	v_add_f64 v[92:93], v[190:191], -v[186:187]
	v_add_f64 v[94:95], v[184:185], v[194:195]
	v_add_f64 v[184:185], v[104:105], v[100:101]
	;; [unrolled: 1-line block ×3, first 2 shown]
	v_add_f64 v[188:189], v[104:105], -v[100:101]
	v_add_f64 v[190:191], v[106:107], -v[102:103]
	;; [unrolled: 1-line block ×4, first 2 shown]
	v_mul_f64 v[112:113], v[176:177], s[2:3]
	v_mul_f64 v[114:115], v[178:179], s[2:3]
	;; [unrolled: 1-line block ×4, first 2 shown]
	v_fmac_f64_e32 v[192:193], s[18:19], v[108:109]
	v_pk_mov_b32 v[108:109], v[10:11], v[10:11] op_sel:[0,1]
	v_add_f64 v[104:105], v[96:97], -v[104:105]
	v_add_f64 v[106:107], v[98:99], -v[106:107]
	v_add_f64 v[96:97], v[184:185], v[96:97]
	v_add_f64 v[98:99], v[186:187], v[98:99]
	v_mul_f64 v[184:185], v[188:189], s[14:15]
	v_mul_f64 v[186:187], v[190:191], s[14:15]
	;; [unrolled: 1-line block ×4, first 2 shown]
	v_fmac_f64_e32 v[108:109], s[18:19], v[110:111]
	v_fma_f64 v[110:111], v[180:181], s[20:21], -v[176:177]
	v_fma_f64 v[176:177], v[182:183], s[20:21], -v[178:179]
	;; [unrolled: 1-line block ×3, first 2 shown]
	v_fmac_f64_e32 v[112:113], s[0:1], v[116:117]
	v_fma_f64 v[116:117], v[182:183], s[22:23], -v[114:115]
	v_fmac_f64_e32 v[114:115], s[0:1], v[118:119]
	v_fma_f64 v[118:119], v[100:101], s[4:5], -v[184:185]
	;; [unrolled: 2-line block ×3, first 2 shown]
	v_fma_f64 v[182:183], v[104:105], s[28:29], -v[188:189]
	v_fma_f64 v[188:189], v[106:107], s[28:29], -v[190:191]
	v_add_f64 v[190:191], v[112:113], v[192:193]
	v_add_f64 v[112:113], v[176:177], v[108:109]
	;; [unrolled: 1-line block ×3, first 2 shown]
	v_add_f64 v[120:121], v[120:121], -v[164:165]
	v_add_f64 v[164:165], v[124:125], v[160:161]
	v_fmac_f64_e32 v[186:187], s[24:25], v[106:107]
	v_add_f64 v[194:195], v[114:115], v[108:109]
	v_add_f64 v[110:111], v[110:111], v[192:193]
	;; [unrolled: 1-line block ×3, first 2 shown]
	v_fmac_f64_e32 v[184:185], s[26:27], v[96:97]
	v_fmac_f64_e32 v[118:119], s[26:27], v[96:97]
	;; [unrolled: 1-line block ×3, first 2 shown]
	v_add_f64 v[178:179], v[122:123], v[166:167]
	v_add_f64 v[122:123], v[122:123], -v[166:167]
	v_add_f64 v[166:167], v[126:127], v[162:163]
	v_add_f64 v[124:125], v[124:125], -v[160:161]
	;; [unrolled: 2-line block ×3, first 2 shown]
	v_add_f64 v[156:157], v[164:165], v[176:177]
	v_add_f64 v[116:117], v[116:117], v[108:109]
	v_fmac_f64_e32 v[186:187], s[26:27], v[98:99]
	v_fmac_f64_e32 v[182:183], s[26:27], v[96:97]
	;; [unrolled: 1-line block ×3, first 2 shown]
	v_add_f64 v[98:99], v[194:195], -v[184:185]
	v_add_f64 v[104:105], v[110:111], -v[180:181]
	v_add_f64 v[106:107], v[118:119], v[112:113]
	v_add_f64 v[108:109], v[180:181], v[110:111]
	v_add_f64 v[110:111], v[112:113], -v[118:119]
	v_add_f64 v[118:119], v[184:185], v[194:195]
	v_add_f64 v[126:127], v[126:127], -v[162:163]
	;; [unrolled: 2-line block ×3, first 2 shown]
	v_add_f64 v[158:159], v[166:167], v[178:179]
	v_add_f64 v[184:185], v[152:153], v[124:125]
	;; [unrolled: 1-line block ×5, first 2 shown]
	v_add_f64 v[102:103], v[116:117], -v[182:183]
	v_add_f64 v[112:113], v[114:115], -v[188:189]
	v_add_f64 v[114:115], v[182:183], v[116:117]
	v_add_f64 v[116:117], v[190:191], -v[186:187]
	v_add_f64 v[180:181], v[164:165], -v[176:177]
	;; [unrolled: 1-line block ×4, first 2 shown]
	v_add_f64 v[186:187], v[154:155], v[126:127]
	v_add_f64 v[188:189], v[152:153], -v[124:125]
	v_add_f64 v[152:153], v[120:121], -v[152:153]
	;; [unrolled: 1-line block ×3, first 2 shown]
	v_add_f64 v[158:159], v[162:163], v[158:159]
	v_add_f64 v[160:161], v[184:185], v[120:121]
	;; [unrolled: 1-line block ×3, first 2 shown]
	v_add_f64 v[182:183], v[166:167], -v[178:179]
	v_add_f64 v[178:179], v[178:179], -v[162:163]
	;; [unrolled: 1-line block ×6, first 2 shown]
	v_add_f64 v[162:163], v[186:187], v[122:123]
	v_add_f64 v[122:123], v[6:7], v[158:159]
	v_pk_mov_b32 v[192:193], v[120:121], v[120:121] op_sel:[0,1]
	v_mul_f64 v[4:5], v[176:177], s[2:3]
	v_mul_f64 v[6:7], v[178:179], s[2:3]
	;; [unrolled: 1-line block ×5, first 2 shown]
	v_fmac_f64_e32 v[192:193], s[18:19], v[156:157]
	v_pk_mov_b32 v[156:157], v[122:123], v[122:123] op_sel:[0,1]
	v_mul_f64 v[186:187], v[190:191], s[14:15]
	v_mul_f64 v[188:189], v[124:125], s[4:5]
	;; [unrolled: 1-line block ×3, first 2 shown]
	v_fmac_f64_e32 v[156:157], s[18:19], v[158:159]
	v_fma_f64 v[158:159], s[0:1], v[164:165], v[4:5]
	v_fma_f64 v[164:165], v[180:181], s[20:21], -v[176:177]
	v_fma_f64 v[176:177], v[182:183], s[20:21], -v[178:179]
	;; [unrolled: 1-line block ×3, first 2 shown]
	v_fmac_f64_e32 v[6:7], s[0:1], v[166:167]
	v_fma_f64 v[166:167], v[124:125], s[4:5], -v[184:185]
	v_fma_f64 v[4:5], v[180:181], s[22:23], -v[4:5]
	v_fma_f64 v[180:181], s[24:25], v[152:153], v[184:185]
	v_fma_f64 v[182:183], v[126:127], s[4:5], -v[186:187]
	v_fmac_f64_e32 v[186:187], s[24:25], v[154:155]
	v_fma_f64 v[184:185], v[152:153], s[28:29], -v[188:189]
	v_fma_f64 v[188:189], v[154:155], s[28:29], -v[190:191]
	v_add_f64 v[176:177], v[176:177], v[156:157]
	v_fmac_f64_e32 v[166:167], s[26:27], v[160:161]
	v_add_f64 v[190:191], v[158:159], v[192:193]
	v_fmac_f64_e32 v[186:187], s[26:27], v[162:163]
	v_fmac_f64_e32 v[182:183], s[26:27], v[162:163]
	;; [unrolled: 1-line block ×3, first 2 shown]
	v_add_f64 v[158:159], v[166:167], v[176:177]
	v_add_f64 v[162:163], v[176:177], -v[166:167]
	v_lshrrev_b32_e32 v176, 2, v244
	v_mul_u32_u24_e32 v176, 28, v176
	v_or_b32_e32 v176, v176, v175
	v_lshlrev_b32_e32 v176, 4, v176
	ds_write_b128 v176, v[20:23]
	ds_write_b128 v176, v[24:27] offset:64
	ds_write_b128 v176, v[28:31] offset:128
	ds_write_b128 v176, v[32:35] offset:192
	ds_write_b128 v176, v[36:39] offset:256
	ds_write_b128 v176, v[40:43] offset:320
	v_lshrrev_b32_e32 v20, 2, v174
	v_mul_u32_u24_e32 v20, 28, v20
	v_or_b32_e32 v20, v20, v175
	v_lshlrev_b32_e32 v20, 4, v20
	buffer_store_dword v176, off, s[36:39], 0 offset:32 ; 4-byte Folded Spill
	ds_write_b128 v176, v[44:47] offset:384
	ds_write_b128 v20, v[16:19]
	ds_write_b128 v20, v[48:51] offset:64
	ds_write_b128 v20, v[52:55] offset:128
	ds_write_b128 v20, v[56:59] offset:192
	ds_write_b128 v20, v[60:63] offset:256
	ds_write_b128 v20, v[64:67] offset:320
	v_lshrrev_b32_e32 v16, 2, v171
	v_mul_u32_u24_e32 v16, 28, v16
	v_or_b32_e32 v16, v16, v175
	v_lshlrev_b32_e32 v16, 4, v16
	buffer_store_dword v20, off, s[36:39], 0 offset:36 ; 4-byte Folded Spill
	ds_write_b128 v20, v[68:71] offset:384
	;; [unrolled: 12-line block ×3, first 2 shown]
	ds_write_b128 v12, v[8:11]
	ds_write_b128 v12, v[96:99] offset:64
	ds_write_b128 v12, v[100:103] offset:128
	;; [unrolled: 1-line block ×5, first 2 shown]
	v_lshrrev_b32_e32 v8, 2, v169
	v_mul_u32_u24_e32 v8, 28, v8
	v_add_f64 v[6:7], v[6:7], v[156:157]
	v_add_f64 v[164:165], v[164:165], v[192:193]
	;; [unrolled: 1-line block ×4, first 2 shown]
	v_fmac_f64_e32 v[180:181], s[26:27], v[160:161]
	v_fmac_f64_e32 v[184:185], s[26:27], v[160:161]
	v_or_b32_e32 v8, v8, v175
	v_add_f64 v[124:125], v[186:187], v[190:191]
	v_add_f64 v[126:127], v[6:7], -v[180:181]
	v_add_f64 v[152:153], v[188:189], v[4:5]
	v_add_f64 v[154:155], v[178:179], -v[184:185]
	v_add_f64 v[156:157], v[164:165], -v[182:183]
	v_add_f64 v[160:161], v[182:183], v[164:165]
	v_add_f64 v[164:165], v[4:5], -v[188:189]
	v_add_f64 v[166:167], v[184:185], v[178:179]
	;; [unrolled: 2-line block ×3, first 2 shown]
	v_lshlrev_b32_e32 v8, 4, v8
	buffer_store_dword v12, off, s[36:39], 0 offset:48 ; 4-byte Folded Spill
	ds_write_b128 v12, v[116:119] offset:384
	ds_write_b128 v8, v[120:123]
	ds_write_b128 v8, v[124:127] offset:64
	ds_write_b128 v8, v[152:155] offset:128
	;; [unrolled: 1-line block ×5, first 2 shown]
	buffer_store_dword v8, off, s[36:39], 0 offset:52 ; 4-byte Folded Spill
	ds_write_b128 v8, v[4:7] offset:384
	s_waitcnt lgkmcnt(0)
	; wave barrier
	s_waitcnt lgkmcnt(0)
	ds_read_b128 v[72:75], v224
	ds_read_b128 v[164:167], v224 offset:15680
	ds_read_b128 v[68:71], v224 offset:896
	;; [unrolled: 1-line block ×33, first 2 shown]
	v_cmp_gt_u16_e64 s[0:1], 28, v244
	s_and_saveexec_b64 s[2:3], s[0:1]
	s_cbranch_execz .LBB0_9
; %bb.8:
	ds_read_b128 v[4:7], v224 offset:15232
	ds_read_b128 v[234:237], v224 offset:30912
.LBB0_9:
	s_or_b64 exec, exec, s[2:3]
	s_movk_i32 s2, 0xffe4
	v_add_co_u32_e64 v175, s[2:3], s2, v244
	v_addc_co_u32_e64 v176, s[2:3], 0, -1, s[2:3]
	v_cndmask_b32_e64 v177, v176, 0, s[0:1]
	v_cndmask_b32_e64 v176, v175, v244, s[0:1]
	v_lshlrev_b64 v[178:179], 4, v[176:177]
	v_mov_b32_e32 v175, s13
	v_add_co_u32_e64 v178, s[2:3], s12, v178
	v_addc_co_u32_e64 v179, s[2:3], v175, v179, s[2:3]
	v_lshrrev_b16_e32 v175, 2, v174
	v_and_b32_e32 v175, 63, v175
	v_mul_lo_u16_e32 v0, 37, v175
	v_mov_b32_e32 v180, 28
	v_mul_lo_u16_sdwa v177, v0, v180 dst_sel:DWORD dst_unused:UNUSED_PAD src0_sel:BYTE_1 src1_sel:DWORD
	v_sub_u16_e32 v174, v174, v177
	v_and_b32_e32 v175, 0xff, v174
	v_lshlrev_b32_e32 v177, 4, v175
	global_load_dwordx4 v[208:211], v[178:179], off offset:384
	global_load_dwordx4 v[204:207], v177, s[12:13] offset:384
	v_lshrrev_b16_e32 v177, 2, v171
	v_and_b32_e32 v177, 63, v177
	v_lshrrev_b16_e32 v179, 2, v170
	v_accvgpr_write_b32 a0, v0
	v_mul_lo_u16_e32 v0, 37, v177
	v_and_b32_e32 v179, 63, v179
	v_mul_lo_u16_sdwa v178, v0, v180 dst_sel:DWORD dst_unused:UNUSED_PAD src0_sel:BYTE_1 src1_sel:DWORD
	v_mul_lo_u16_e32 v254, 37, v179
	v_sub_u16_e32 v178, v171, v178
	v_mul_lo_u16_sdwa v180, v254, v180 dst_sel:DWORD dst_unused:UNUSED_PAD src0_sel:BYTE_1 src1_sel:DWORD
	v_and_b32_e32 v245, 0xff, v178
	v_sub_u16_e32 v180, v170, v180
	v_lshlrev_b32_e32 v181, 4, v245
	v_and_b32_e32 v255, 0xff, v180
	v_lshlrev_b32_e32 v182, 4, v255
	global_load_dwordx4 v[226:229], v181, s[12:13] offset:384
	global_load_dwordx4 v[212:215], v182, s[12:13] offset:384
	v_lshrrev_b16_e32 v181, 2, v169
	v_mul_u32_u24_e32 v181, 0x4925, v181
	v_lshrrev_b16_e32 v183, 2, v220
	v_lshrrev_b32_e32 v174, 17, v181
	v_mul_u32_u24_e32 v183, 0x4925, v183
	v_mul_lo_u16_e32 v182, 28, v174
	v_lshrrev_b32_e32 v183, 17, v183
	v_sub_u16_e32 v182, v169, v182
	v_mul_lo_u16_e32 v185, 28, v183
	v_accvgpr_write_b32 a6, v169
	v_lshlrev_b32_e32 v184, 4, v182
	v_sub_u16_e32 v169, v220, v185
	s_waitcnt lgkmcnt(0)
	v_pk_mov_b32 v[136:137], v[234:235], v[234:235] op_sel:[0,1]
	v_lshlrev_b32_e32 v185, 4, v169
	v_pk_mov_b32 v[138:139], v[236:237], v[236:237] op_sel:[0,1]
	global_load_dwordx4 v[234:237], v184, s[12:13] offset:384
	global_load_dwordx4 v[230:233], v185, s[12:13] offset:384
	v_lshrrev_b16_e32 v184, 2, v218
	v_mul_u32_u24_e32 v184, 0x4925, v184
	v_lshrrev_b32_e32 v184, 17, v184
	v_mul_lo_u16_e32 v185, 28, v184
	v_sub_u16_e32 v177, v218, v185
	v_lshrrev_b16_e32 v185, 2, v168
	v_mul_u32_u24_e32 v185, 0x4925, v185
	v_lshrrev_b32_e32 v185, 17, v185
	v_mul_lo_u16_e32 v187, 28, v185
	v_lshlrev_b32_e32 v186, 4, v177
	v_sub_u16_e32 v168, v168, v187
	v_accvgpr_read_b32 v188, a2
	v_lshlrev_b32_e32 v187, 4, v168
	global_load_dwordx4 v[250:253], v186, s[12:13] offset:384
	global_load_dwordx4 v[238:241], v187, s[12:13] offset:384
	v_lshrrev_b16_e32 v186, 2, v188
	v_mul_u32_u24_e32 v186, 0x4925, v186
	v_lshrrev_b32_e32 v186, 17, v186
	v_mul_lo_u16_e32 v187, 28, v186
	v_add_u16_e32 v189, 0x1f8, v244
	v_sub_u16_e32 v187, v188, v187
	v_lshrrev_b16_e32 v188, 2, v189
	v_mul_u32_u24_e32 v188, 0x4925, v188
	v_lshrrev_b32_e32 v188, 17, v188
	v_mul_lo_u16_e32 v191, 28, v188
	v_sub_u16_e32 v189, v189, v191
	v_lshlrev_b32_e32 v190, 4, v187
	v_lshlrev_b32_e32 v191, 4, v189
	global_load_dwordx4 v[220:223], v190, s[12:13] offset:384
	global_load_dwordx4 v[216:219], v191, s[12:13] offset:384
	v_add_u16_e32 v191, 0x230, v244
	v_lshrrev_b16_e32 v190, 2, v191
	v_mul_u32_u24_e32 v190, 0x4925, v190
	v_lshrrev_b32_e32 v190, 17, v190
	v_mul_lo_u16_e32 v192, 28, v190
	v_add_u16_e32 v193, 0x268, v244
	v_sub_u16_e32 v191, v191, v192
	v_lshrrev_b16_e32 v192, 2, v193
	v_mul_u32_u24_e32 v192, 0x4925, v192
	v_lshrrev_b32_e32 v192, 17, v192
	v_mul_lo_u16_e32 v195, 28, v192
	v_sub_u16_e32 v193, v193, v195
	v_lshlrev_b32_e32 v194, 4, v191
	v_lshlrev_b32_e32 v195, 4, v193
	global_load_dwordx4 v[178:181], v194, s[12:13] offset:384
	global_load_dwordx4 v[246:249], v195, s[12:13] offset:384
	v_add_u16_e32 v195, 0x2a0, v244
	v_lshrrev_b16_e32 v194, 2, v195
	v_mul_u32_u24_e32 v194, 0x4925, v194
	v_lshrrev_b32_e32 v194, 17, v194
	v_mul_lo_u16_e32 v196, 28, v194
	v_add_u16_e32 v197, 0x2d8, v244
	v_sub_u16_e32 v195, v195, v196
	v_lshrrev_b16_e32 v196, 2, v197
	v_mul_u32_u24_e32 v196, 0x4925, v196
	v_lshrrev_b32_e32 v196, 17, v196
	v_mul_lo_u16_e32 v199, 28, v196
	v_lshlrev_b32_e32 v198, 4, v195
	v_sub_u16_e32 v197, v197, v199
	v_accvgpr_write_b32 a1, v0
	v_accvgpr_write_b32 a8, v171
	v_accvgpr_write_b32 a7, v170
	v_lshlrev_b32_e32 v199, 4, v197
	global_load_dwordx4 v[170:173], v198, s[12:13] offset:384
	global_load_dwordx4 v[0:3], v199, s[12:13] offset:384
	v_add_u16_e32 v198, 0x310, v244
	v_lshrrev_b16_e32 v199, 2, v198
	v_mul_u32_u24_e32 v199, 0x4925, v199
	v_lshrrev_b32_e32 v199, 17, v199
	v_mul_lo_u16_e32 v200, 28, v199
	v_add_u16_e32 v202, 0x348, v244
	v_sub_u16_e32 v200, v198, v200
	v_lshrrev_b16_e32 v198, 2, v202
	v_mul_u32_u24_e32 v198, 0x4925, v198
	v_lshlrev_b32_e32 v201, 4, v200
	v_lshrrev_b32_e32 v198, 17, v198
	global_load_dwordx4 v[132:135], v201, s[12:13] offset:384
	v_mul_lo_u16_e32 v201, 28, v198
	v_sub_u16_e32 v201, v202, v201
	v_lshlrev_b32_e32 v202, 4, v201
	global_load_dwordx4 v[128:131], v202, s[12:13] offset:384
	s_waitcnt vmcnt(15)
	v_mul_f64 v[202:203], v[166:167], v[210:211]
	v_fma_f64 v[202:203], v[164:165], v[208:209], -v[202:203]
	v_mul_f64 v[164:165], v[164:165], v[210:211]
	v_fmac_f64_e32 v[164:165], v[166:167], v[208:209]
	s_waitcnt vmcnt(14)
	v_mul_f64 v[166:167], v[162:163], v[206:207]
	v_fma_f64 v[166:167], v[160:161], v[204:205], -v[166:167]
	v_mul_f64 v[160:161], v[160:161], v[206:207]
	v_fmac_f64_e32 v[160:161], v[162:163], v[204:205]
	;; [unrolled: 5-line block ×8, first 2 shown]
	s_waitcnt vmcnt(7)
	v_mul_f64 v[114:115], v[110:111], v[222:223]
	v_fma_f64 v[114:115], v[108:109], v[220:221], -v[114:115]
	v_mul_f64 v[108:109], v[108:109], v[222:223]
	v_accvgpr_write_b32 a152, v204
	v_fmac_f64_e32 v[108:109], v[110:111], v[220:221]
	s_waitcnt vmcnt(6)
	v_mul_f64 v[110:111], v[106:107], v[218:219]
	v_accvgpr_write_b32 a156, v208
	v_accvgpr_write_b32 a153, v205
	v_accvgpr_write_b32 a154, v206
	v_accvgpr_write_b32 a155, v207
	v_fma_f64 v[110:111], v[104:105], v[216:217], -v[110:111]
	v_mul_f64 v[204:205], v[104:105], v[218:219]
	s_waitcnt vmcnt(5)
	v_mul_f64 v[104:105], v[102:103], v[180:181]
	v_accvgpr_write_b32 a157, v209
	v_accvgpr_write_b32 a158, v210
	v_accvgpr_write_b32 a159, v211
	v_accvgpr_write_b32 a160, v212
	v_fma_f64 v[206:207], v[100:101], v[178:179], -v[104:105]
	v_mul_f64 v[208:209], v[100:101], v[180:181]
	;; [unrolled: 8-line block ×3, first 2 shown]
	v_accvgpr_write_b32 a164, v226
	v_accvgpr_write_b32 a185, v217
	;; [unrolled: 1-line block ×4, first 2 shown]
	s_waitcnt vmcnt(3)
	v_mul_f64 v[96:97], v[94:95], v[172:173]
	v_fmac_f64_e32 v[204:205], v[106:107], v[216:217]
	v_fma_f64 v[214:215], v[92:93], v[170:171], -v[96:97]
	v_mul_f64 v[216:217], v[92:93], v[172:173]
	s_waitcnt vmcnt(2)
	v_mul_f64 v[92:93], v[90:91], v[2:3]
	v_accvgpr_write_b32 a165, v227
	v_accvgpr_write_b32 a166, v228
	v_accvgpr_write_b32 a167, v229
	v_accvgpr_write_b32 a168, v230
	v_fma_f64 v[226:227], v[88:89], v[0:1], -v[92:93]
	v_mul_f64 v[228:229], v[88:89], v[2:3]
	v_accvgpr_write_b32 a169, v231
	v_accvgpr_write_b32 a170, v232
	s_waitcnt vmcnt(1)
	v_mul_f64 v[88:89], v[86:87], v[134:135]
	v_accvgpr_write_b32 a171, v233
	v_fma_f64 v[230:231], v[84:85], v[132:133], -v[88:89]
	v_mul_f64 v[84:85], v[84:85], v[134:135]
	v_accvgpr_write_b32 a172, v234
	v_fmac_f64_e32 v[84:85], v[86:87], v[132:133]
	s_waitcnt vmcnt(0)
	v_mul_f64 v[86:87], v[82:83], v[130:131]
	v_accvgpr_write_b32 a173, v235
	v_accvgpr_write_b32 a174, v236
	;; [unrolled: 1-line block ×3, first 2 shown]
	v_fma_f64 v[232:233], v[80:81], v[128:129], -v[86:87]
	v_mul_f64 v[234:235], v[80:81], v[130:131]
	v_or_b32_e32 v80, 0x380, v244
	v_lshrrev_b16_e32 v81, 2, v80
	v_accvgpr_write_b32 a188, v220
	v_mul_u32_u24_e32 v81, 0x4925, v81
	v_accvgpr_write_b32 a189, v221
	v_accvgpr_write_b32 a190, v222
	;; [unrolled: 1-line block ×3, first 2 shown]
	v_lshrrev_b32_e32 v223, 17, v81
	v_mul_lo_u16_e32 v81, 28, v223
	v_sub_u16_e32 v225, v80, v81
	v_add_u16_e32 v81, 0x3b8, v244
	v_fmac_f64_e32 v[234:235], v[82:83], v[128:129]
	v_lshrrev_b16_e32 v82, 2, v81
	v_mul_u32_u24_e32 v82, 0x4925, v82
	v_lshrrev_b32_e32 v82, 17, v82
	v_mul_lo_u16_e32 v82, 28, v82
	v_accvgpr_write_b32 a203, v3
	v_lshlrev_b32_e32 v80, 4, v225
	v_sub_u16_e32 v81, v81, v82
	v_accvgpr_write_b32 a202, v2
	v_accvgpr_write_b32 a201, v1
	;; [unrolled: 1-line block ×3, first 2 shown]
	v_fmac_f64_e32 v[228:229], v[90:91], v[0:1]
	v_lshlrev_b32_e32 v81, 4, v81
	global_load_dwordx4 v[0:3], v80, s[12:13] offset:384
	global_load_dwordx4 v[86:89], v81, s[12:13] offset:384
	v_accvgpr_write_b32 a176, v238
	buffer_store_dword v81, off, s[36:39], 0 offset:40 ; 4-byte Folded Spill
	v_accvgpr_write_b32 a177, v239
	v_accvgpr_write_b32 a178, v240
	;; [unrolled: 1-line block ×3, first 2 shown]
	v_cmp_lt_u16_e64 s[2:3], 27, v244
	s_waitcnt lgkmcnt(0)
	; wave barrier
	v_fmac_f64_e32 v[216:217], v[94:95], v[170:171]
	v_add_f64 v[94:95], v[52:53], -v[126:127]
	v_mov_b32_e32 v126, 56
	v_add_f64 v[82:83], v[66:67], -v[156:157]
	v_fma_f64 v[66:67], v[66:67], 2.0, -v[82:83]
	v_add_f64 v[90:91], v[56:57], -v[154:155]
	v_add_f64 v[92:93], v[58:59], -v[124:125]
	v_fma_f64 v[56:57], v[56:57], 2.0, -v[90:91]
	v_fma_f64 v[58:59], v[58:59], 2.0, -v[92:93]
	v_add_f64 v[96:97], v[54:55], -v[120:121]
	v_fma_f64 v[52:53], v[52:53], 2.0, -v[94:95]
	v_fma_f64 v[54:55], v[54:55], 2.0, -v[96:97]
	v_fmac_f64_e32 v[212:213], v[98:99], v[246:247]
	v_add_f64 v[98:99], v[48:49], -v[122:123]
	v_add_f64 v[100:101], v[50:51], -v[116:117]
	v_fma_f64 v[48:49], v[48:49], 2.0, -v[98:99]
	v_fma_f64 v[50:51], v[50:51], 2.0, -v[100:101]
	v_fmac_f64_e32 v[208:209], v[102:103], v[178:179]
	v_add_f64 v[102:103], v[44:45], -v[118:119]
	v_add_f64 v[104:105], v[46:47], -v[112:113]
	v_fma_f64 v[44:45], v[44:45], 2.0, -v[102:103]
	v_fma_f64 v[46:47], v[46:47], 2.0, -v[104:105]
	v_add_f64 v[106:107], v[40:41], -v[114:115]
	v_add_f64 v[108:109], v[42:43], -v[108:109]
	v_fma_f64 v[40:41], v[40:41], 2.0, -v[106:107]
	v_fma_f64 v[42:43], v[42:43], 2.0, -v[108:109]
	;; [unrolled: 4-line block ×6, first 2 shown]
	v_add_f64 v[154:155], v[22:23], -v[228:229]
	v_fma_f64 v[22:23], v[22:23], 2.0, -v[154:155]
	v_add_f64 v[156:157], v[16:17], -v[230:231]
	v_fma_f64 v[16:17], v[16:17], 2.0, -v[156:157]
	v_accvgpr_write_b32 a180, v250
	v_accvgpr_write_b32 a199, v181
	;; [unrolled: 1-line block ×24, first 2 shown]
	s_waitcnt vmcnt(2)
	v_mul_f64 v[80:81], v[78:79], v[2:3]
	v_fma_f64 v[236:237], v[76:77], v[0:1], -v[80:81]
	v_mul_f64 v[238:239], v[76:77], v[2:3]
	s_waitcnt vmcnt(1)
	v_mul_f64 v[76:77], v[138:139], v[88:89]
	v_mul_f64 v[242:243], v[136:137], v[88:89]
	v_accvgpr_write_b32 a151, v89
	v_accvgpr_write_b32 a227, v3
	v_fma_f64 v[240:241], v[136:137], v[86:87], -v[76:77]
	v_accvgpr_write_b32 a150, v88
	v_accvgpr_write_b32 a149, v87
	;; [unrolled: 1-line block ×3, first 2 shown]
	v_fmac_f64_e32 v[242:243], v[138:139], v[86:87]
	v_add_f64 v[86:87], v[60:61], -v[158:159]
	v_add_f64 v[158:159], v[18:19], -v[84:85]
	v_cndmask_b32_e64 v84, 0, 56, s[2:3]
	v_accvgpr_write_b32 a226, v2
	v_accvgpr_write_b32 a225, v1
	;; [unrolled: 1-line block ×3, first 2 shown]
	v_fmac_f64_e32 v[238:239], v[78:79], v[0:1]
	v_add_f64 v[0:1], v[72:73], -v[202:203]
	v_add_f64 v[2:3], v[74:75], -v[164:165]
	v_add_lshl_u32 v84, v176, v84, 4
	v_fma_f64 v[74:75], v[74:75], 2.0, -v[2:3]
	ds_write_b128 v84, v[0:3] offset:448
	v_add_f64 v[2:3], v[6:7], -v[242:243]
	v_fma_f64 v[72:73], v[72:73], 2.0, -v[0:1]
	v_add_f64 v[0:1], v[4:5], -v[240:241]
	v_accvgpr_write_b32 a29, v3
	v_accvgpr_write_b32 a28, v2
	;; [unrolled: 1-line block ×4, first 2 shown]
	v_accvgpr_read_b32 v0, a0
	v_add_f64 v[76:77], v[68:69], -v[166:167]
	v_add_f64 v[78:79], v[70:71], -v[160:161]
	v_mul_u32_u24_sdwa v0, v0, v126 dst_sel:DWORD dst_unused:UNUSED_PAD src0_sel:BYTE_1 src1_sel:DWORD
	v_fma_f64 v[68:69], v[68:69], 2.0, -v[76:77]
	v_fma_f64 v[70:71], v[70:71], 2.0, -v[78:79]
	v_add_lshl_u32 v0, v0, v175, 4
	ds_write_b128 v84, v[72:75]
	ds_write_b128 v0, v[68:71]
	buffer_store_dword v0, off, s[36:39], 0 offset:60 ; 4-byte Folded Spill
	ds_write_b128 v0, v[76:79] offset:448
	v_accvgpr_read_b32 v0, a1
	v_add_f64 v[80:81], v[64:65], -v[162:163]
	v_mul_u32_u24_sdwa v0, v0, v126 dst_sel:DWORD dst_unused:UNUSED_PAD src0_sel:BYTE_1 src1_sel:DWORD
	v_fma_f64 v[64:65], v[64:65], 2.0, -v[80:81]
	v_add_lshl_u32 v0, v0, v245, 4
	v_add_f64 v[88:89], v[62:63], -v[152:153]
	ds_write_b128 v0, v[64:67]
	buffer_store_dword v0, off, s[36:39], 0 offset:64 ; 4-byte Folded Spill
	ds_write_b128 v0, v[80:83] offset:448
	v_mul_u32_u24_sdwa v0, v254, v126 dst_sel:DWORD dst_unused:UNUSED_PAD src0_sel:BYTE_1 src1_sel:DWORD
	v_fma_f64 v[60:61], v[60:61], 2.0, -v[86:87]
	v_fma_f64 v[62:63], v[62:63], 2.0, -v[88:89]
	v_add_lshl_u32 v0, v0, v255, 4
	ds_write_b128 v0, v[60:63]
	buffer_store_dword v0, off, s[36:39], 0 offset:68 ; 4-byte Folded Spill
	ds_write_b128 v0, v[86:89] offset:448
	v_mad_legacy_u16 v0, v174, 56, v182
	v_lshlrev_b32_e32 v0, 4, v0
	ds_write_b128 v0, v[56:59]
	buffer_store_dword v0, off, s[36:39], 0 offset:72 ; 4-byte Folded Spill
	ds_write_b128 v0, v[90:93] offset:448
	v_mad_legacy_u16 v0, v183, 56, v169
	v_lshlrev_b32_e32 v0, 4, v0
	;; [unrolled: 5-line block ×5, first 2 shown]
	v_add_f64 v[166:167], v[10:11], -v[238:239]
	ds_write_b128 v0, v[40:43]
	v_mov_b32_e32 v239, v0
	ds_write_b128 v0, v[106:109] offset:448
	v_mad_legacy_u16 v0, v188, 56, v189
	v_lshlrev_b32_e32 v0, 4, v0
	ds_write_b128 v0, v[36:39]
	v_accvgpr_write_b32 a236, v0
	ds_write_b128 v0, v[110:113] offset:448
	v_mad_legacy_u16 v0, v190, 56, v191
	v_lshlrev_b32_e32 v0, 4, v0
	ds_write_b128 v0, v[32:35]
	v_accvgpr_write_b32 a237, v0
	;; [unrolled: 5-line block ×3, first 2 shown]
	ds_write_b128 v0, v[118:121] offset:448
	v_mad_legacy_u16 v0, v194, 56, v195
	v_lshlrev_b32_e32 v0, 4, v0
	v_add_f64 v[152:153], v[20:21], -v[226:227]
	ds_write_b128 v0, v[24:27]
	v_accvgpr_write_b32 a0, v0
	ds_write_b128 v0, v[122:125] offset:448
	v_mad_legacy_u16 v0, v196, 56, v197
	v_fma_f64 v[20:21], v[20:21], 2.0, -v[152:153]
	v_lshlrev_b32_e32 v0, 4, v0
	ds_write_b128 v0, v[20:23]
	v_accvgpr_write_b32 a5, v0
	ds_write_b128 v0, v[152:155] offset:448
	v_mad_legacy_u16 v0, v199, 56, v200
	v_fma_f64 v[18:19], v[18:19], 2.0, -v[158:159]
	v_lshlrev_b32_e32 v0, 4, v0
	v_add_f64 v[160:161], v[12:13], -v[232:233]
	v_add_f64 v[162:163], v[14:15], -v[234:235]
	ds_write_b128 v0, v[16:19]
	v_accvgpr_write_b32 a1, v0
	ds_write_b128 v0, v[156:159] offset:448
	v_mad_legacy_u16 v0, v198, 56, v201
	v_fma_f64 v[12:13], v[12:13], 2.0, -v[160:161]
	v_fma_f64 v[14:15], v[14:15], 2.0, -v[162:163]
	v_lshlrev_b32_e32 v0, 4, v0
	ds_write_b128 v0, v[12:15]
	v_accvgpr_write_b32 a246, v0
	ds_write_b128 v0, v[160:163] offset:448
	v_mad_legacy_u16 v0, v223, 56, v225
	v_add_f64 v[164:165], v[8:9], -v[236:237]
	v_lshlrev_b32_e32 v0, 4, v0
	v_fma_f64 v[8:9], v[8:9], 2.0, -v[164:165]
	v_fma_f64 v[10:11], v[10:11], 2.0, -v[166:167]
	v_accvgpr_write_b32 a247, v0
	buffer_store_dword v84, off, s[36:39], 0 offset:56 ; 4-byte Folded Spill
	ds_write_b128 v0, v[8:11]
	ds_write_b128 v0, v[164:167] offset:448
	s_and_saveexec_b64 s[2:3], s[0:1]
	s_cbranch_execz .LBB0_11
; %bb.10:
	v_accvgpr_read_b32 v8, a26
	v_accvgpr_read_b32 v9, a27
	v_fma_f64 v[0:1], v[4:5], 2.0, -v[8:9]
	buffer_load_dword v4, off, s[36:39], 0 offset:40 ; 4-byte Folded Reload
	v_accvgpr_read_b32 v10, a28
	v_accvgpr_read_b32 v11, a29
	v_fma_f64 v[2:3], v[6:7], 2.0, -v[10:11]
	s_waitcnt vmcnt(0)
	ds_write_b128 v4, v[0:3] offset:30464
	ds_write_b128 v4, a[26:29] offset:30912
.LBB0_11:
	s_or_b64 exec, exec, s[2:3]
	s_movk_i32 s2, 0x60
	v_pk_mov_b32 v[124:125], s[12:13], s[12:13] op_sel:[0,1]
	v_mad_u64_u32 v[0:1], s[4:5], v244, s2, v[124:125]
	s_waitcnt lgkmcnt(0)
	; wave barrier
	s_waitcnt lgkmcnt(0)
	global_load_dwordx4 v[162:165], v[0:1], off offset:832
	global_load_dwordx4 v[168:171], v[0:1], off offset:848
	global_load_dwordx4 v[172:175], v[0:1], off offset:864
	global_load_dwordx4 v[128:131], v[0:1], off offset:880
	v_mov_b32_e32 v214, v244
	global_load_dwordx4 v[244:247], v[0:1], off offset:896
	global_load_dwordx4 v[240:243], v[0:1], off offset:912
	v_accvgpr_read_b32 v133, a8
	v_lshrrev_b16_e32 v127, 3, v133
	v_and_b32_e32 v127, 31, v127
	v_accvgpr_read_b32 v132, a7
	v_mul_lo_u16_e32 v127, 37, v127
	v_lshrrev_b16_e32 v152, 3, v132
	v_mul_lo_u16_sdwa v127, v127, v126 dst_sel:DWORD dst_unused:UNUSED_PAD src0_sel:BYTE_1 src1_sel:DWORD
	v_and_b32_e32 v152, 31, v152
	v_sub_u16_e32 v127, v133, v127
	v_mul_lo_u16_e32 v152, 37, v152
	v_and_b32_e32 v215, 0xff, v127
	v_mul_lo_u16_sdwa v154, v152, v126 dst_sel:DWORD dst_unused:UNUSED_PAD src0_sel:BYTE_1 src1_sel:DWORD
	v_mad_u64_u32 v[152:153], s[4:5], v215, s2, v[124:125]
	ds_read_b128 v[0:3], v224
	ds_read_b128 v[120:123], v224 offset:4480
	ds_read_b128 v[116:119], v224 offset:8960
	;; [unrolled: 1-line block ×30, first 2 shown]
	global_load_dwordx4 v[226:229], v[152:153], off offset:832
	global_load_dwordx4 v[204:207], v[152:153], off offset:848
	v_sub_u16_e32 v127, v132, v154
	v_and_b32_e32 v213, 0xff, v127
	v_mad_u64_u32 v[124:125], s[2:3], v213, s2, v[124:125]
	global_load_dwordx4 v[220:223], v[152:153], off offset:880
	global_load_dwordx4 v[252:255], v[152:153], off offset:864
	;; [unrolled: 1-line block ×6, first 2 shown]
	v_mov_b32_e32 v212, s13
	s_mov_b32 s28, 0xaaaaaaaa
	s_mov_b32 s4, 0x37e14327
	;; [unrolled: 1-line block ×18, first 2 shown]
	s_movk_i32 s13, 0x1840
	v_lshlrev_b32_e32 v225, 4, v215
	s_waitcnt vmcnt(13) lgkmcnt(14)
	v_mul_f64 v[152:153], v[122:123], v[164:165]
	s_waitcnt vmcnt(12)
	v_mul_f64 v[154:155], v[118:119], v[170:171]
	v_mul_f64 v[182:183], v[116:117], v[170:171]
	v_fma_f64 v[190:191], v[116:117], v[168:169], -v[154:155]
	s_waitcnt vmcnt(9)
	v_mul_f64 v[160:161], v[106:107], v[246:247]
	v_fma_f64 v[196:197], v[104:105], v[244:245], -v[160:161]
	v_mul_f64 v[198:199], v[104:105], v[246:247]
	s_waitcnt vmcnt(8)
	v_mul_f64 v[104:105], v[102:103], v[242:243]
	v_fma_f64 v[200:201], v[100:101], v[240:241], -v[104:105]
	v_accvgpr_read_b32 v105, a6
	v_lshrrev_b16_e32 v104, 3, v105
	v_mul_u32_u24_e32 v104, 0x2493, v104
	v_mul_lo_u16_sdwa v104, v104, v126 dst_sel:DWORD dst_unused:UNUSED_PAD src0_sel:WORD_1 src1_sel:DWORD
	v_fmac_f64_e32 v[182:183], v[118:119], v[168:169]
	global_load_dwordx4 v[116:119], v[124:125], off offset:864
	v_sub_u16_e32 v238, v105, v104
	v_mul_f64 v[186:187], v[120:121], v[164:165]
	v_mul_f64 v[158:159], v[110:111], v[130:131]
	v_mul_lo_u16_e32 v104, 0x60, v238
	v_mul_f64 v[184:185], v[108:109], v[130:131]
	v_fma_f64 v[194:195], v[120:121], v[162:163], -v[152:153]
	v_fmac_f64_e32 v[186:187], v[122:123], v[162:163]
	v_fma_f64 v[192:193], v[108:109], v[128:129], -v[158:159]
	v_fmac_f64_e32 v[198:199], v[106:107], v[244:245]
	global_load_dwordx4 v[106:109], v[124:125], off offset:880
	global_load_dwordx4 v[120:123], v[124:125], off offset:912
	;; [unrolled: 1-line block ×3, first 2 shown]
	v_add_co_u32_e64 v104, s[2:3], s12, v104
	v_addc_co_u32_e64 v105, s[2:3], 0, v212, s[2:3]
	v_mul_f64 v[180:181], v[112:113], v[174:175]
	global_load_dwordx4 v[230:233], v[104:105], off offset:832
	global_load_dwordx4 v[124:127], v[104:105], off offset:848
	v_mul_f64 v[156:157], v[114:115], v[174:175]
	v_fmac_f64_e32 v[180:181], v[114:115], v[172:173]
	v_mul_f64 v[202:203], v[100:101], v[242:243]
	v_mul_f64 v[100:101], v[98:99], v[164:165]
	;; [unrolled: 1-line block ×3, first 2 shown]
	v_accvgpr_write_b32 a116, v162
	v_fma_f64 v[188:189], v[112:113], v[172:173], -v[156:157]
	v_fma_f64 v[112:113], v[96:97], v[162:163], -v[100:101]
	v_accvgpr_write_b32 a117, v163
	v_accvgpr_write_b32 a118, v164
	;; [unrolled: 1-line block ×3, first 2 shown]
	v_fmac_f64_e32 v[114:115], v[98:99], v[162:163]
	global_load_dwordx4 v[160:163], v[104:105], off offset:864
	global_load_dwordx4 v[156:159], v[104:105], off offset:880
	;; [unrolled: 1-line block ×4, first 2 shown]
	v_mul_f64 v[96:97], v[94:95], v[170:171]
	v_fma_f64 v[164:165], v[92:93], v[168:169], -v[96:97]
	v_mul_f64 v[166:167], v[92:93], v[170:171]
	v_accvgpr_write_b32 a108, v168
	v_mul_f64 v[92:93], v[90:91], v[174:175]
	v_accvgpr_write_b32 a109, v169
	v_accvgpr_write_b32 a110, v170
	;; [unrolled: 1-line block ×3, first 2 shown]
	v_fmac_f64_e32 v[166:167], v[94:95], v[168:169]
	v_fma_f64 v[168:169], v[88:89], v[172:173], -v[92:93]
	v_mul_f64 v[170:171], v[88:89], v[174:175]
	v_accvgpr_write_b32 a10, v172
	v_mul_f64 v[88:89], v[86:87], v[130:131]
	v_accvgpr_write_b32 a11, v173
	v_accvgpr_write_b32 a12, v174
	;; [unrolled: 1-line block ×3, first 2 shown]
	v_fmac_f64_e32 v[170:171], v[90:91], v[172:173]
	v_fma_f64 v[172:173], v[84:85], v[128:129], -v[88:89]
	v_mul_f64 v[84:85], v[84:85], v[130:131]
	v_fmac_f64_e32 v[84:85], v[86:87], v[128:129]
	v_mul_f64 v[86:87], v[82:83], v[246:247]
	v_fma_f64 v[86:87], v[80:81], v[244:245], -v[86:87]
	v_mul_f64 v[174:175], v[80:81], v[246:247]
	v_mul_f64 v[80:81], v[78:79], v[242:243]
	v_fma_f64 v[176:177], v[76:77], v[240:241], -v[80:81]
	v_mul_f64 v[178:179], v[76:77], v[242:243]
	s_waitcnt vmcnt(17)
	v_mul_f64 v[76:77], v[74:75], v[228:229]
	v_fma_f64 v[76:77], v[72:73], v[226:227], -v[76:77]
	v_mul_f64 v[72:73], v[72:73], v[228:229]
	v_fmac_f64_e32 v[72:73], v[74:75], v[226:227]
	s_waitcnt vmcnt(16)
	v_mul_f64 v[74:75], v[70:71], v[206:207]
	v_fma_f64 v[74:75], v[68:69], v[204:205], -v[74:75]
	v_mul_f64 v[68:69], v[68:69], v[206:207]
	v_fmac_f64_e32 v[68:69], v[70:71], v[204:205]
	;; [unrolled: 5-line block ×3, first 2 shown]
	v_mul_f64 v[66:67], v[62:63], v[222:223]
	v_fma_f64 v[66:67], v[60:61], v[220:221], -v[66:67]
	v_mul_f64 v[60:61], v[60:61], v[222:223]
	v_fmac_f64_e32 v[60:61], v[62:63], v[220:221]
	s_waitcnt vmcnt(12) lgkmcnt(13)
	v_mul_f64 v[62:63], v[58:59], v[218:219]
	v_fmac_f64_e32 v[178:179], v[78:79], v[240:241]
	v_fma_f64 v[62:63], v[56:57], v[216:217], -v[62:63]
	v_mul_f64 v[78:79], v[56:57], v[218:219]
	s_waitcnt lgkmcnt(12)
	v_mul_f64 v[56:57], v[54:55], v[134:135]
	v_fmac_f64_e32 v[174:175], v[82:83], v[244:245]
	v_fma_f64 v[80:81], v[52:53], v[132:133], -v[56:57]
	v_mul_f64 v[82:83], v[52:53], v[134:135]
	s_waitcnt vmcnt(10) lgkmcnt(11)
	v_mul_f64 v[52:53], v[50:51], v[250:251]
	v_fma_f64 v[88:89], v[48:49], v[248:249], -v[52:53]
	v_mul_f64 v[90:91], v[48:49], v[250:251]
	s_waitcnt lgkmcnt(10)
	v_mul_f64 v[48:49], v[46:47], v[210:211]
	v_fma_f64 v[92:93], v[44:45], v[208:209], -v[48:49]
	v_mul_f64 v[94:95], v[44:45], v[210:211]
	s_waitcnt vmcnt(9) lgkmcnt(9)
	v_mul_f64 v[44:45], v[42:43], v[118:119]
	v_fma_f64 v[96:97], v[40:41], v[116:117], -v[44:45]
	v_mul_f64 v[98:99], v[40:41], v[118:119]
	s_waitcnt vmcnt(8) lgkmcnt(8)
	v_mul_f64 v[40:41], v[38:39], v[108:109]
	v_fmac_f64_e32 v[202:203], v[102:103], v[240:241]
	v_fma_f64 v[100:101], v[36:37], v[106:107], -v[40:41]
	v_mul_f64 v[102:103], v[36:37], v[108:109]
	v_accvgpr_write_b32 a235, v109
	s_waitcnt vmcnt(6) lgkmcnt(7)
	v_mul_f64 v[36:37], v[34:35], v[154:155]
	v_accvgpr_write_b32 a234, v108
	v_accvgpr_write_b32 a233, v107
	;; [unrolled: 1-line block ×3, first 2 shown]
	v_fmac_f64_e32 v[102:103], v[38:39], v[106:107]
	v_fma_f64 v[104:105], v[32:33], v[152:153], -v[36:37]
	v_mul_f64 v[106:107], v[32:33], v[154:155]
	s_waitcnt lgkmcnt(6)
	v_mul_f64 v[32:33], v[30:31], v[122:123]
	v_fmac_f64_e32 v[184:185], v[110:111], v[128:129]
	v_accvgpr_write_b32 a84, v116
	v_fma_f64 v[108:109], v[28:29], v[120:121], -v[32:33]
	v_mul_f64 v[110:111], v[28:29], v[122:123]
	s_waitcnt vmcnt(5) lgkmcnt(5)
	v_mul_f64 v[28:29], v[26:27], v[232:233]
	v_accvgpr_write_b32 a85, v117
	v_accvgpr_write_b32 a86, v118
	;; [unrolled: 1-line block ×3, first 2 shown]
	v_fmac_f64_e32 v[98:99], v[42:43], v[116:117]
	v_accvgpr_write_b32 a6, v120
	v_fma_f64 v[116:117], v[24:25], v[230:231], -v[28:29]
	v_mul_f64 v[118:119], v[24:25], v[232:233]
	s_waitcnt vmcnt(4) lgkmcnt(4)
	v_mul_f64 v[24:25], v[22:23], v[126:127]
	v_accvgpr_write_b32 a80, v226
	v_accvgpr_write_b32 a7, v121
	;; [unrolled: 1-line block ×4, first 2 shown]
	v_fmac_f64_e32 v[110:111], v[30:31], v[120:121]
	v_accvgpr_write_b32 a104, v230
	v_fma_f64 v[120:121], v[20:21], v[124:125], -v[24:25]
	v_mul_f64 v[122:123], v[20:21], v[126:127]
	v_accvgpr_write_b32 a100, v124
	s_waitcnt vmcnt(3) lgkmcnt(3)
	v_mul_f64 v[20:21], v[18:19], v[162:163]
	v_accvgpr_write_b32 a81, v227
	v_accvgpr_write_b32 a82, v228
	;; [unrolled: 1-line block ×7, first 2 shown]
	v_fmac_f64_e32 v[118:119], v[26:27], v[230:231]
	s_waitcnt vmcnt(0)
	v_accvgpr_read_b32 v231, a91
	v_accvgpr_write_b32 a101, v125
	v_accvgpr_write_b32 a102, v126
	;; [unrolled: 1-line block ×3, first 2 shown]
	v_fmac_f64_e32 v[122:123], v[22:23], v[124:125]
	v_fma_f64 v[124:125], v[16:17], v[160:161], -v[20:21]
	v_mul_f64 v[126:127], v[16:17], v[162:163]
	s_waitcnt lgkmcnt(2)
	v_mul_f64 v[16:17], v[14:15], v[158:159]
	v_accvgpr_write_b32 a77, v153
	v_accvgpr_write_b32 a78, v154
	;; [unrolled: 1-line block ×3, first 2 shown]
	v_fmac_f64_e32 v[106:107], v[34:35], v[152:153]
	v_accvgpr_read_b32 v230, a90
	v_accvgpr_read_b32 v229, a89
	;; [unrolled: 1-line block ×3, first 2 shown]
	v_fma_f64 v[152:153], v[12:13], v[156:157], -v[16:17]
	v_mul_f64 v[154:155], v[12:13], v[158:159]
	v_accvgpr_write_b32 a88, v156
	s_waitcnt lgkmcnt(1)
	v_mul_f64 v[12:13], v[10:11], v[236:237]
	v_accvgpr_write_b32 a96, v160
	v_accvgpr_write_b32 a89, v157
	;; [unrolled: 1-line block ×4, first 2 shown]
	v_fmac_f64_e32 v[154:155], v[14:15], v[156:157]
	v_fma_f64 v[156:157], v[8:9], v[234:235], -v[12:13]
	v_mul_f64 v[158:159], v[8:9], v[236:237]
	s_waitcnt lgkmcnt(0)
	v_mul_f64 v[8:9], v[6:7], v[230:231]
	v_accvgpr_write_b32 a97, v161
	v_accvgpr_write_b32 a98, v162
	;; [unrolled: 1-line block ×3, first 2 shown]
	v_fmac_f64_e32 v[126:127], v[18:19], v[160:161]
	v_fma_f64 v[160:161], v[4:5], v[228:229], -v[8:9]
	v_mul_f64 v[162:163], v[4:5], v[230:231]
	v_add_f64 v[4:5], v[194:195], v[200:201]
	v_add_f64 v[12:13], v[190:191], v[196:197]
	v_fmac_f64_e32 v[162:163], v[6:7], v[228:229]
	v_add_f64 v[6:7], v[186:187], v[202:203]
	v_add_f64 v[14:15], v[182:183], v[198:199]
	;; [unrolled: 1-line block ×4, first 2 shown]
	v_add_f64 v[16:17], v[190:191], -v[196:197]
	v_add_f64 v[18:19], v[182:183], -v[198:199]
	v_add_f64 v[22:23], v[180:181], v[184:185]
	v_add_f64 v[24:25], v[192:193], -v[188:189]
	v_add_f64 v[26:27], v[184:185], -v[180:181]
	v_add_f64 v[30:31], v[14:15], v[6:7]
	v_add_f64 v[32:33], v[12:13], -v[4:5]
	v_add_f64 v[4:5], v[4:5], -v[20:21]
	;; [unrolled: 1-line block ×3, first 2 shown]
	v_add_f64 v[20:21], v[20:21], v[28:29]
	v_fmac_f64_e32 v[158:159], v[10:11], v[234:235]
	v_add_f64 v[8:9], v[194:195], -v[200:201]
	v_add_f64 v[10:11], v[186:187], -v[202:203]
	;; [unrolled: 1-line block ×5, first 2 shown]
	v_add_f64 v[36:37], v[24:25], v[16:17]
	v_add_f64 v[22:23], v[22:23], v[30:31]
	;; [unrolled: 1-line block ×5, first 2 shown]
	v_add_f64 v[30:31], v[24:25], -v[16:17]
	v_add_f64 v[24:25], v[8:9], -v[24:25]
	;; [unrolled: 1-line block ×3, first 2 shown]
	v_add_f64 v[8:9], v[36:37], v[8:9]
	v_add_f64 v[36:37], v[26:27], -v[18:19]
	v_add_f64 v[26:27], v[10:11], -v[26:27]
	;; [unrolled: 1-line block ×3, first 2 shown]
	v_add_f64 v[10:11], v[28:29], v[10:11]
	s_mov_b32 s2, 0x36b3c0b5
	v_pk_mov_b32 v[28:29], v[0:1], v[0:1] op_sel:[0,1]
	s_mov_b32 s3, 0x3fac98ee
	v_fmac_f64_e32 v[28:29], s[28:29], v[20:21]
	v_pk_mov_b32 v[20:21], v[2:3], v[2:3] op_sel:[0,1]
	v_mul_f64 v[4:5], v[4:5], s[4:5]
	v_fmac_f64_e32 v[20:21], s[28:29], v[22:23]
	v_mul_f64 v[22:23], v[12:13], s[2:3]
	v_mul_f64 v[6:7], v[6:7], s[4:5]
	v_fma_f64 v[22:23], v[32:33], s[26:27], -v[22:23]
	v_fma_f64 v[32:33], v[32:33], s[18:19], -v[4:5]
	v_fmac_f64_e32 v[4:5], s[2:3], v[12:13]
	v_mul_f64 v[12:13], v[14:15], s[2:3]
	v_mul_f64 v[36:37], v[36:37], s[30:31]
	v_fma_f64 v[12:13], v[34:35], s[26:27], -v[12:13]
	v_fma_f64 v[34:35], v[34:35], s[18:19], -v[6:7]
	v_fmac_f64_e32 v[6:7], s[2:3], v[14:15]
	v_mul_f64 v[14:15], v[16:17], s[20:21]
	v_mul_f64 v[30:31], v[30:31], s[30:31]
	v_fma_f64 v[38:39], v[24:25], s[24:25], -v[14:15]
	v_mul_f64 v[14:15], v[18:19], s[20:21]
	v_fma_f64 v[18:19], v[18:19], s[20:21], -v[36:37]
	v_fmac_f64_e32 v[36:37], s[14:15], v[26:27]
	v_fma_f64 v[16:17], v[16:17], s[20:21], -v[30:31]
	v_fmac_f64_e32 v[30:31], s[14:15], v[24:25]
	v_fma_f64 v[40:41], v[26:27], s[24:25], -v[14:15]
	v_add_f64 v[42:43], v[4:5], v[28:29]
	v_add_f64 v[44:45], v[6:7], v[20:21]
	;; [unrolled: 1-line block ×5, first 2 shown]
	v_fmac_f64_e32 v[36:37], s[22:23], v[10:11]
	v_fmac_f64_e32 v[18:19], s[22:23], v[10:11]
	;; [unrolled: 1-line block ×3, first 2 shown]
	v_add_f64 v[28:29], v[32:33], v[28:29]
	v_fmac_f64_e32 v[30:31], s[22:23], v[8:9]
	v_fmac_f64_e32 v[16:17], s[22:23], v[8:9]
	;; [unrolled: 1-line block ×3, first 2 shown]
	v_add_f64 v[4:5], v[36:37], v[42:43]
	v_add_f64 v[8:9], v[14:15], -v[18:19]
	v_add_f64 v[12:13], v[18:19], v[14:15]
	v_add_f64 v[26:27], v[20:21], -v[38:39]
	;; [unrolled: 2-line block ×3, first 2 shown]
	v_add_f64 v[32:33], v[112:113], v[176:177]
	v_add_f64 v[36:37], v[164:165], v[86:87]
	;; [unrolled: 1-line block ×3, first 2 shown]
	v_add_f64 v[14:15], v[22:23], -v[16:17]
	v_add_f64 v[24:25], v[40:41], v[28:29]
	v_add_f64 v[16:17], v[28:29], -v[40:41]
	v_add_f64 v[34:35], v[114:115], v[178:179]
	v_add_f64 v[38:39], v[168:169], v[172:173]
	;; [unrolled: 1-line block ×4, first 2 shown]
	v_add_f64 v[6:7], v[44:45], -v[30:31]
	v_add_f64 v[22:23], v[30:31], v[44:45]
	v_add_f64 v[40:41], v[38:39], v[28:29]
	;; [unrolled: 1-line block ×4, first 2 shown]
	v_fmac_f64_e32 v[94:95], v[46:47], v[208:209]
	v_add_f64 v[46:47], v[44:45], v[28:29]
	ds_read_b128 v[28:31], v224 offset:896
	v_add_f64 v[52:53], v[164:165], -v[86:87]
	v_add_f64 v[56:57], v[172:173], -v[168:169]
	v_fmac_f64_e32 v[78:79], v[58:59], v[216:217]
	v_fmac_f64_e32 v[82:83], v[54:55], v[132:133]
	v_add_f64 v[48:49], v[112:113], -v[176:177]
	v_add_f64 v[54:55], v[166:167], -v[174:175]
	;; [unrolled: 1-line block ×9, first 2 shown]
	v_add_f64 v[44:45], v[56:57], v[52:53]
	v_fmac_f64_e32 v[90:91], v[50:51], v[248:249]
	s_waitcnt lgkmcnt(0)
	v_add_f64 v[28:29], v[28:29], v[40:41]
	v_add_f64 v[50:51], v[114:115], -v[178:179]
	v_add_f64 v[86:87], v[56:57], -v[52:53]
	;; [unrolled: 1-line block ×4, first 2 shown]
	v_add_f64 v[44:45], v[44:45], v[48:49]
	v_add_f64 v[48:49], v[58:59], v[54:55]
	;; [unrolled: 1-line block ×3, first 2 shown]
	v_add_f64 v[112:113], v[58:59], -v[54:55]
	v_add_f64 v[58:59], v[50:51], -v[58:59]
	;; [unrolled: 1-line block ×3, first 2 shown]
	v_add_f64 v[48:49], v[48:49], v[50:51]
	v_pk_mov_b32 v[50:51], v[28:29], v[28:29] op_sel:[0,1]
	v_fmac_f64_e32 v[50:51], s[28:29], v[40:41]
	v_pk_mov_b32 v[40:41], v[30:31], v[30:31] op_sel:[0,1]
	v_fmac_f64_e32 v[40:41], s[28:29], v[46:47]
	v_mul_f64 v[32:33], v[32:33], s[4:5]
	v_mul_f64 v[46:47], v[36:37], s[2:3]
	v_fma_f64 v[46:47], v[84:85], s[26:27], -v[46:47]
	v_fma_f64 v[84:85], v[84:85], s[18:19], -v[32:33]
	v_fmac_f64_e32 v[32:33], s[2:3], v[36:37]
	v_mul_f64 v[34:35], v[34:35], s[4:5]
	v_mul_f64 v[36:37], v[42:43], s[2:3]
	v_fma_f64 v[36:37], v[38:39], s[26:27], -v[36:37]
	v_fma_f64 v[38:39], v[38:39], s[18:19], -v[34:35]
	v_fmac_f64_e32 v[34:35], s[2:3], v[42:43]
	v_mul_f64 v[86:87], v[86:87], s[30:31]
	v_mul_f64 v[42:43], v[52:53], s[20:21]
	v_fma_f64 v[52:53], v[52:53], s[20:21], -v[86:87]
	v_fmac_f64_e32 v[86:87], s[14:15], v[56:57]
	v_fma_f64 v[42:43], v[56:57], s[24:25], -v[42:43]
	v_mul_f64 v[56:57], v[112:113], s[30:31]
	v_mul_f64 v[112:113], v[54:55], s[20:21]
	v_fma_f64 v[54:55], v[54:55], s[20:21], -v[56:57]
	v_fmac_f64_e32 v[56:57], s[14:15], v[58:59]
	v_fma_f64 v[58:59], v[58:59], s[24:25], -v[112:113]
	v_add_f64 v[46:47], v[46:47], v[50:51]
	v_add_f64 v[84:85], v[84:85], v[50:51]
	;; [unrolled: 1-line block ×3, first 2 shown]
	v_fmac_f64_e32 v[86:87], s[22:23], v[44:45]
	v_fmac_f64_e32 v[54:55], s[22:23], v[48:49]
	;; [unrolled: 1-line block ×3, first 2 shown]
	v_add_f64 v[112:113], v[32:33], v[50:51]
	v_add_f64 v[50:51], v[36:37], v[40:41]
	;; [unrolled: 1-line block ×3, first 2 shown]
	v_fmac_f64_e32 v[56:57], s[22:23], v[48:49]
	v_fmac_f64_e32 v[52:53], s[22:23], v[44:45]
	;; [unrolled: 1-line block ×3, first 2 shown]
	v_add_f64 v[32:33], v[46:47], -v[54:55]
	v_add_f64 v[36:37], v[54:55], v[46:47]
	v_add_f64 v[48:49], v[58:59], v[84:85]
	v_add_f64 v[40:41], v[84:85], -v[58:59]
	v_add_f64 v[54:55], v[114:115], -v[86:87]
	v_add_f64 v[46:47], v[86:87], v[114:115]
	v_add_f64 v[84:85], v[76:77], v[80:81]
	v_add_f64 v[86:87], v[74:75], v[62:63]
	v_add_f64 v[34:35], v[52:53], v[50:51]
	v_add_f64 v[38:39], v[50:51], -v[52:53]
	v_add_f64 v[50:51], v[164:165], -v[42:43]
	v_add_f64 v[42:43], v[42:43], v[164:165]
	v_add_f64 v[52:53], v[56:57], v[112:113]
	v_add_f64 v[44:45], v[112:113], -v[56:57]
	v_add_f64 v[112:113], v[70:71], v[66:67]
	v_add_f64 v[56:57], v[86:87], v[84:85]
	;; [unrolled: 1-line block ×8, first 2 shown]
	ds_read_b128 v[56:59], v224 offset:1792
	v_add_f64 v[62:63], v[74:75], -v[62:63]
	v_add_f64 v[68:69], v[68:69], -v[78:79]
	;; [unrolled: 1-line block ×4, first 2 shown]
	s_waitcnt lgkmcnt(0)
	v_add_f64 v[56:57], v[56:57], v[114:115]
	v_add_f64 v[58:59], v[58:59], v[170:171]
	v_add_f64 v[72:73], v[72:73], -v[82:83]
	v_add_f64 v[70:71], v[66:67], -v[70:71]
	v_pk_mov_b32 v[78:79], v[56:57], v[56:57] op_sel:[0,1]
	v_pk_mov_b32 v[80:81], v[58:59], v[58:59] op_sel:[0,1]
	v_add_f64 v[66:67], v[74:75], -v[68:69]
	v_fmac_f64_e32 v[78:79], s[28:29], v[114:115]
	v_fmac_f64_e32 v[80:81], s[28:29], v[170:171]
	v_add_f64 v[82:83], v[86:87], -v[84:85]
	v_add_f64 v[86:87], v[112:113], -v[86:87]
	;; [unrolled: 1-line block ×4, first 2 shown]
	v_add_f64 v[60:61], v[70:71], v[62:63]
	v_add_f64 v[64:65], v[70:71], -v[62:63]
	v_add_f64 v[170:171], v[62:63], -v[76:77]
	v_add_f64 v[62:63], v[74:75], v[68:69]
	v_add_f64 v[68:69], v[68:69], -v[72:73]
	v_mul_f64 v[178:179], v[66:67], s[30:31]
	v_add_f64 v[84:85], v[84:85], -v[112:113]
	v_add_f64 v[112:113], v[164:165], -v[168:169]
	v_add_f64 v[174:175], v[62:63], v[72:73]
	v_mul_f64 v[62:63], v[166:167], s[2:3]
	v_fma_f64 v[182:183], v[68:69], s[20:21], -v[178:179]
	v_add_f64 v[164:165], v[72:73], -v[74:75]
	v_mul_f64 v[84:85], v[84:85], s[4:5]
	v_mul_f64 v[112:113], v[112:113], s[4:5]
	;; [unrolled: 1-line block ×3, first 2 shown]
	v_add_f64 v[172:173], v[60:61], v[76:77]
	v_mul_f64 v[60:61], v[86:87], s[2:3]
	v_fma_f64 v[62:63], v[114:115], s[26:27], -v[62:63]
	v_fma_f64 v[72:73], v[82:83], s[18:19], -v[84:85]
	;; [unrolled: 1-line block ×4, first 2 shown]
	v_mul_f64 v[176:177], v[64:65], s[30:31]
	v_fma_f64 v[60:61], v[82:83], s[26:27], -v[60:61]
	v_add_f64 v[76:77], v[76:77], -v[70:71]
	v_mul_f64 v[70:71], v[170:171], s[20:21]
	v_add_f64 v[72:73], v[72:73], v[78:79]
	v_fmac_f64_e32 v[114:115], s[22:23], v[174:175]
	v_fmac_f64_e32 v[84:85], s[2:3], v[86:87]
	;; [unrolled: 1-line block ×3, first 2 shown]
	v_add_f64 v[64:65], v[60:61], v[78:79]
	v_fma_f64 v[180:181], v[170:171], s[20:21], -v[176:177]
	v_fma_f64 v[82:83], v[76:77], s[24:25], -v[70:71]
	v_add_f64 v[68:69], v[114:115], v[72:73]
	v_add_f64 v[72:73], v[72:73], -v[114:115]
	v_fmac_f64_e32 v[176:177], s[14:15], v[76:77]
	v_add_f64 v[76:77], v[84:85], v[78:79]
	v_add_f64 v[78:79], v[112:113], v[80:81]
	;; [unrolled: 1-line block ×4, first 2 shown]
	v_fmac_f64_e32 v[178:179], s[14:15], v[164:165]
	v_add_f64 v[164:165], v[96:97], v[100:101]
	v_add_f64 v[84:85], v[114:115], v[112:113]
	v_add_f64 v[168:169], v[90:91], v[110:111]
	v_add_f64 v[170:171], v[94:95], v[106:107]
	v_fmac_f64_e32 v[180:181], s[22:23], v[172:173]
	v_fmac_f64_e32 v[82:83], s[22:23], v[172:173]
	;; [unrolled: 1-line block ×3, first 2 shown]
	v_add_f64 v[166:167], v[164:165], v[84:85]
	v_add_f64 v[172:173], v[98:99], v[102:103]
	;; [unrolled: 1-line block ×3, first 2 shown]
	v_fmac_f64_e32 v[182:183], s[22:23], v[174:175]
	v_fmac_f64_e32 v[178:179], s[22:23], v[174:175]
	v_add_f64 v[174:175], v[172:173], v[84:85]
	ds_read_b128 v[84:87], v224 offset:2688
	v_add_f64 v[108:109], v[88:89], -v[108:109]
	v_add_f64 v[110:111], v[90:91], -v[110:111]
	;; [unrolled: 1-line block ×4, first 2 shown]
	s_waitcnt lgkmcnt(0)
	v_add_f64 v[84:85], v[84:85], v[166:167]
	v_add_f64 v[86:87], v[86:87], v[174:175]
	v_add_f64 v[96:97], v[100:101], -v[96:97]
	v_add_f64 v[98:99], v[102:103], -v[98:99]
	v_pk_mov_b32 v[104:105], v[84:85], v[84:85] op_sel:[0,1]
	v_pk_mov_b32 v[106:107], v[86:87], v[86:87] op_sel:[0,1]
	v_add_f64 v[66:67], v[62:63], v[80:81]
	v_add_f64 v[74:75], v[74:75], v[80:81]
	v_fmac_f64_e32 v[104:105], s[28:29], v[166:167]
	v_fmac_f64_e32 v[106:107], s[28:29], v[174:175]
	v_add_f64 v[100:101], v[114:115], -v[112:113]
	v_add_f64 v[114:115], v[164:165], -v[114:115]
	;; [unrolled: 1-line block ×4, first 2 shown]
	v_add_f64 v[92:93], v[96:97], v[88:89]
	v_add_f64 v[94:95], v[96:97], -v[88:89]
	v_add_f64 v[170:171], v[88:89], -v[108:109]
	v_add_f64 v[88:89], v[98:99], v[90:91]
	v_add_f64 v[174:175], v[98:99], -v[90:91]
	v_add_f64 v[112:113], v[112:113], -v[164:165]
	;; [unrolled: 1-line block ×3, first 2 shown]
	v_add_f64 v[62:63], v[180:181], v[66:67]
	v_add_f64 v[66:67], v[66:67], -v[180:181]
	v_add_f64 v[70:71], v[74:75], -v[82:83]
	v_add_f64 v[74:75], v[82:83], v[74:75]
	v_add_f64 v[80:81], v[178:179], v[76:77]
	v_add_f64 v[82:83], v[78:79], -v[176:177]
	v_add_f64 v[76:77], v[76:77], -v[178:179]
	v_add_f64 v[78:79], v[176:177], v[78:79]
	v_add_f64 v[176:177], v[90:91], -v[110:111]
	v_add_f64 v[178:179], v[92:93], v[108:109]
	v_add_f64 v[180:181], v[88:89], v[110:111]
	v_mul_f64 v[174:175], v[174:175], s[30:31]
	v_mul_f64 v[88:89], v[114:115], s[2:3]
	;; [unrolled: 1-line block ×3, first 2 shown]
	v_add_f64 v[108:109], v[108:109], -v[96:97]
	v_add_f64 v[110:111], v[110:111], -v[98:99]
	v_mul_f64 v[112:113], v[112:113], s[4:5]
	v_mul_f64 v[164:165], v[164:165], s[4:5]
	;; [unrolled: 1-line block ×3, first 2 shown]
	v_add_f64 v[60:61], v[64:65], -v[182:183]
	v_add_f64 v[64:65], v[182:183], v[64:65]
	v_mul_f64 v[182:183], v[94:95], s[30:31]
	v_fma_f64 v[88:89], v[100:101], s[26:27], -v[88:89]
	v_fma_f64 v[90:91], v[102:103], s[26:27], -v[90:91]
	v_fma_f64 v[186:187], v[176:177], s[20:21], -v[174:175]
	v_mul_f64 v[98:99], v[176:177], s[20:21]
	v_fma_f64 v[100:101], v[100:101], s[18:19], -v[112:113]
	v_fma_f64 v[102:103], v[102:103], s[18:19], -v[164:165]
	;; [unrolled: 1-line block ×3, first 2 shown]
	v_fmac_f64_e32 v[112:113], s[2:3], v[114:115]
	v_fmac_f64_e32 v[164:165], s[2:3], v[166:167]
	;; [unrolled: 1-line block ×3, first 2 shown]
	v_add_f64 v[92:93], v[88:89], v[104:105]
	v_add_f64 v[94:95], v[90:91], v[106:107]
	v_fma_f64 v[184:185], v[170:171], s[20:21], -v[182:183]
	v_fma_f64 v[170:171], v[110:111], s[24:25], -v[98:99]
	v_add_f64 v[100:101], v[100:101], v[104:105]
	v_add_f64 v[102:103], v[102:103], v[106:107]
	v_fmac_f64_e32 v[168:169], s[22:23], v[178:179]
	v_add_f64 v[104:105], v[112:113], v[104:105]
	v_add_f64 v[106:107], v[164:165], v[106:107]
	v_fmac_f64_e32 v[174:175], s[22:23], v[180:181]
	v_add_f64 v[164:165], v[116:117], v[160:161]
	v_add_f64 v[166:167], v[120:121], v[156:157]
	v_fmac_f64_e32 v[170:171], s[22:23], v[180:181]
	v_add_f64 v[98:99], v[102:103], -v[168:169]
	v_add_f64 v[102:103], v[168:169], v[102:103]
	v_fmac_f64_e32 v[182:183], s[14:15], v[108:109]
	v_add_f64 v[108:109], v[174:175], v[104:105]
	v_add_f64 v[104:105], v[104:105], -v[174:175]
	v_add_f64 v[168:169], v[124:125], v[152:153]
	v_add_f64 v[112:113], v[166:167], v[164:165]
	;; [unrolled: 1-line block ×5, first 2 shown]
	v_add_f64 v[100:101], v[100:101], -v[170:171]
	v_add_f64 v[170:171], v[168:169], v[112:113]
	v_add_f64 v[176:177], v[126:127], v[154:155]
	;; [unrolled: 1-line block ×3, first 2 shown]
	v_fmac_f64_e32 v[184:185], s[22:23], v[178:179]
	v_fmac_f64_e32 v[182:183], s[22:23], v[178:179]
	v_add_f64 v[178:179], v[176:177], v[112:113]
	ds_read_b128 v[112:115], v224 offset:3584
	v_add_f64 v[160:161], v[116:117], -v[160:161]
	v_add_f64 v[162:163], v[118:119], -v[162:163]
	;; [unrolled: 1-line block ×4, first 2 shown]
	s_waitcnt lgkmcnt(0)
	v_add_f64 v[112:113], v[112:113], v[170:171]
	v_add_f64 v[114:115], v[114:115], v[178:179]
	v_add_f64 v[124:125], v[152:153], -v[124:125]
	v_add_f64 v[126:127], v[154:155], -v[126:127]
	v_pk_mov_b32 v[156:157], v[112:113], v[112:113] op_sel:[0,1]
	v_fmac_f64_e32 v[156:157], s[28:29], v[170:171]
	v_pk_mov_b32 v[158:159], v[114:115], v[114:115] op_sel:[0,1]
	v_add_f64 v[152:153], v[166:167], -v[164:165]
	v_add_f64 v[166:167], v[168:169], -v[166:167]
	;; [unrolled: 1-line block ×4, first 2 shown]
	v_add_f64 v[120:121], v[124:125], v[116:117]
	v_add_f64 v[122:123], v[124:125], -v[116:117]
	v_add_f64 v[174:175], v[116:117], -v[160:161]
	v_add_f64 v[116:117], v[126:127], v[118:119]
	v_add_f64 v[164:165], v[164:165], -v[168:169]
	v_add_f64 v[168:169], v[172:173], -v[176:177]
	s_waitcnt lgkmcnt(0)
	; wave barrier
	ds_write_b128 v224, v[0:3]
	ds_write_b128 v224, v[4:7] offset:896
	ds_write_b128 v224, v[24:27] offset:1792
	;; [unrolled: 1-line block ×13, first 2 shown]
	v_accvgpr_read_b32 v0, a18
	v_fmac_f64_e32 v[186:187], s[22:23], v[180:181]
	v_add_f64 v[90:91], v[184:185], v[94:95]
	v_add_f64 v[94:95], v[94:95], -v[184:185]
	v_fmac_f64_e32 v[158:159], s[28:29], v[178:179]
	v_add_f64 v[178:179], v[126:127], -v[118:119]
	v_add_f64 v[180:181], v[118:119], -v[162:163]
	v_add_f64 v[184:185], v[116:117], v[162:163]
	v_mul_f64 v[116:117], v[166:167], s[2:3]
	v_mul_f64 v[118:119], v[170:171], s[2:3]
	;; [unrolled: 1-line block ×4, first 2 shown]
	v_lshlrev_b32_e32 v0, 4, v0
	v_fma_f64 v[116:117], v[152:153], s[26:27], -v[116:117]
	v_fma_f64 v[118:119], v[154:155], s[26:27], -v[118:119]
	v_fma_f64 v[152:153], v[152:153], s[18:19], -v[164:165]
	v_fma_f64 v[154:155], v[154:155], s[18:19], -v[168:169]
	v_fma_f64 v[164:165], s[2:3], v[166:167], v[164:165]
	v_fmac_f64_e32 v[168:169], s[2:3], v[170:171]
	v_add_co_u32_e64 v2, s[2:3], s12, v0
	v_addc_co_u32_e64 v3, s[2:3], 0, v212, s[2:3]
	v_add_f64 v[88:89], v[92:93], -v[186:187]
	v_add_f64 v[92:93], v[186:187], v[92:93]
	v_mul_f64 v[186:187], v[122:123], s[30:31]
	v_mul_f64 v[178:179], v[178:179], s[30:31]
	v_add_co_u32_e64 v0, s[2:3], s13, v2
	v_add_f64 v[110:111], v[106:107], -v[182:183]
	v_add_f64 v[106:107], v[182:183], v[106:107]
	v_add_f64 v[182:183], v[120:121], v[160:161]
	v_fma_f64 v[188:189], v[174:175], s[20:21], -v[186:187]
	v_fma_f64 v[190:191], v[180:181], s[20:21], -v[178:179]
	v_add_f64 v[160:161], v[160:161], -v[124:125]
	v_add_f64 v[162:163], v[162:163], -v[126:127]
	v_mul_f64 v[124:125], v[174:175], s[20:21]
	v_mul_f64 v[126:127], v[180:181], s[20:21]
	v_addc_co_u32_e64 v1, s[2:3], 0, v3, s[2:3]
	s_movk_i32 s20, 0x1000
	v_fma_f64 v[172:173], v[160:161], s[24:25], -v[124:125]
	v_fma_f64 v[174:175], v[162:163], s[24:25], -v[126:127]
	v_fma_f64 v[166:167], s[14:15], v[160:161], v[186:187]
	v_fmac_f64_e32 v[178:179], s[14:15], v[162:163]
	v_add_co_u32_e64 v2, s[2:3], s20, v2
	v_accvgpr_write_b32 a112, v234
	v_add_f64 v[120:121], v[116:117], v[156:157]
	v_add_f64 v[122:123], v[118:119], v[158:159]
	v_fmac_f64_e32 v[188:189], s[22:23], v[182:183]
	v_fmac_f64_e32 v[190:191], s[22:23], v[184:185]
	v_add_f64 v[152:153], v[152:153], v[156:157]
	v_add_f64 v[154:155], v[154:155], v[158:159]
	v_fmac_f64_e32 v[172:173], s[22:23], v[182:183]
	v_fmac_f64_e32 v[174:175], s[22:23], v[184:185]
	;; [unrolled: 4-line block ×3, first 2 shown]
	v_lshlrev_b32_e32 v233, 4, v213
	v_lshlrev_b32_e32 v232, 4, v238
	v_addc_co_u32_e64 v3, s[2:3], 0, v3, s[2:3]
	v_accvgpr_write_b32 a113, v235
	v_accvgpr_write_b32 a114, v236
	;; [unrolled: 1-line block ×3, first 2 shown]
	v_add_f64 v[116:117], v[120:121], -v[190:191]
	v_add_f64 v[118:119], v[188:189], v[122:123]
	v_add_f64 v[120:121], v[190:191], v[120:121]
	v_add_f64 v[122:123], v[122:123], -v[188:189]
	v_add_f64 v[124:125], v[174:175], v[152:153]
	v_add_f64 v[126:127], v[154:155], -v[172:173]
	v_add_f64 v[152:153], v[152:153], -v[174:175]
	v_add_f64 v[154:155], v[172:173], v[154:155]
	v_add_f64 v[156:157], v[178:179], v[160:161]
	v_add_f64 v[158:159], v[162:163], -v[166:167]
	v_add_f64 v[160:161], v[160:161], -v[178:179]
	v_add_f64 v[162:163], v[166:167], v[162:163]
	ds_write_b128 v225, v[56:59] offset:12544
	ds_write_b128 v225, v[80:83] offset:13440
	;; [unrolled: 1-line block ×21, first 2 shown]
	s_waitcnt lgkmcnt(0)
	; wave barrier
	s_waitcnt lgkmcnt(0)
	global_load_dwordx4 v[62:65], v[2:3], off offset:2112
	global_load_dwordx4 v[234:237], v[0:1], off offset:48
	;; [unrolled: 1-line block ×4, first 2 shown]
	v_accvgpr_read_b32 v0, a17
	v_lshlrev_b32_e32 v0, 4, v0
	v_add_co_u32_e64 v1, s[2:3], s12, v0
	v_addc_co_u32_e64 v4, s[2:3], 0, v212, s[2:3]
	v_add_co_u32_e64 v0, s[2:3], s13, v1
	v_add_co_u32_e64 v2, s[4:5], s20, v1
	v_addc_co_u32_e64 v3, s[4:5], 0, v4, s[4:5]
	v_addc_co_u32_e64 v1, s[2:3], 0, v4, s[2:3]
	global_load_dwordx4 v[80:83], v[2:3], off offset:2112
	global_load_dwordx4 v[76:79], v[0:1], off offset:48
	;; [unrolled: 1-line block ×4, first 2 shown]
	v_accvgpr_read_b32 v0, a16
	v_lshlrev_b32_e32 v0, 4, v0
	v_add_co_u32_e64 v1, s[2:3], s12, v0
	v_addc_co_u32_e64 v4, s[2:3], 0, v212, s[2:3]
	v_add_co_u32_e64 v0, s[2:3], s13, v1
	v_add_co_u32_e64 v2, s[4:5], s20, v1
	v_accvgpr_write_b32 a241, v131
	v_addc_co_u32_e64 v3, s[4:5], 0, v4, s[4:5]
	v_addc_co_u32_e64 v1, s[2:3], 0, v4, s[2:3]
	v_accvgpr_write_b32 a240, v130
	v_accvgpr_write_b32 a239, v129
	;; [unrolled: 1-line block ×3, first 2 shown]
	global_load_dwordx4 v[118:121], v[2:3], off offset:2112
	global_load_dwordx4 v[114:117], v[0:1], off offset:48
	;; [unrolled: 1-line block ×4, first 2 shown]
	v_accvgpr_read_b32 v0, a15
	v_lshlrev_b32_e32 v0, 4, v0
	v_add_co_u32_e64 v2, s[2:3], s12, v0
	v_addc_co_u32_e64 v3, s[2:3], 0, v212, s[2:3]
	v_add_co_u32_e64 v0, s[2:3], s20, v2
	v_addc_co_u32_e64 v1, s[2:3], 0, v3, s[2:3]
	v_accvgpr_write_b32 a251, v135
	v_add_co_u32_e64 v24, s[2:3], s13, v2
	v_accvgpr_write_b32 a250, v134
	v_accvgpr_write_b32 a249, v133
	;; [unrolled: 1-line block ×3, first 2 shown]
	global_load_dwordx4 v[130:133], v[0:1], off offset:2112
	v_addc_co_u32_e64 v25, s[2:3], 0, v3, s[2:3]
	global_load_dwordx4 v[162:165], v[24:25], off offset:16
	ds_read_b128 v[0:3], v224 offset:6272
	ds_read_b128 v[4:7], v224 offset:12544
	;; [unrolled: 1-line block ×3, first 2 shown]
	global_load_dwordx4 v[158:161], v[24:25], off offset:32
	ds_read_b128 v[12:15], v224 offset:25088
	ds_read_b128 v[16:19], v224 offset:7168
	ds_read_b128 v[20:23], v224 offset:13440
	global_load_dwordx4 v[152:155], v[24:25], off offset:48
	v_accvgpr_read_b32 v24, a14
	v_add_co_u32_e64 v112, s[2:3], s12, v24
	v_addc_co_u32_e64 v113, s[2:3], 0, v212, s[2:3]
	v_add_co_u32_e64 v24, s[2:3], s20, v112
	v_addc_co_u32_e64 v25, s[2:3], 0, v113, s[2:3]
	global_load_dwordx4 v[166:169], v[24:25], off offset:2112
	v_accvgpr_write_b32 a245, v207
	v_accvgpr_write_b32 a244, v206
	;; [unrolled: 1-line block ×6, first 2 shown]
	s_waitcnt vmcnt(16) lgkmcnt(5)
	v_mul_f64 v[56:57], v[2:3], v[64:65]
	v_fma_f64 v[106:107], v[0:1], v[62:63], -v[56:57]
	v_mul_f64 v[104:105], v[0:1], v[64:65]
	s_waitcnt vmcnt(13) lgkmcnt(4)
	v_mul_f64 v[0:1], v[6:7], v[74:75]
	v_fma_f64 v[204:205], v[4:5], v[72:73], -v[0:1]
	s_waitcnt lgkmcnt(3)
	v_mul_f64 v[0:1], v[10:11], v[60:61]
	v_fma_f64 v[206:207], v[8:9], v[58:59], -v[0:1]
	s_waitcnt lgkmcnt(2)
	v_mul_f64 v[0:1], v[14:15], v[236:237]
	v_accvgpr_write_b32 a253, v209
	v_accvgpr_write_b32 a252, v208
	v_fma_f64 v[210:211], v[12:13], v[234:235], -v[0:1]
	ds_read_b128 v[24:27], v224 offset:19712
	ds_read_b128 v[28:31], v224 offset:25984
	;; [unrolled: 1-line block ×10, first 2 shown]
	v_accvgpr_write_b32 a127, v75
	v_mul_f64 v[200:201], v[4:5], v[74:75]
	v_accvgpr_write_b32 a126, v74
	v_accvgpr_write_b32 a125, v73
	;; [unrolled: 1-line block ×3, first 2 shown]
	v_mul_f64 v[202:203], v[8:9], v[60:61]
	s_waitcnt vmcnt(12) lgkmcnt(11)
	v_mul_f64 v[0:1], v[18:19], v[82:83]
	v_fma_f64 v[90:91], v[16:17], v[80:81], -v[0:1]
	s_waitcnt vmcnt(9) lgkmcnt(10)
	v_mul_f64 v[0:1], v[22:23], v[100:101]
	v_fma_f64 v[96:97], v[20:21], v[98:99], -v[0:1]
	v_mul_f64 v[92:93], v[20:21], v[100:101]
	v_accvgpr_write_b32 a50, v98
	s_waitcnt lgkmcnt(9)
	v_mul_f64 v[0:1], v[26:27], v[86:87]
	v_accvgpr_write_b32 a51, v99
	v_accvgpr_write_b32 a52, v100
	;; [unrolled: 1-line block ×3, first 2 shown]
	v_fmac_f64_e32 v[92:93], v[22:23], v[98:99]
	v_fma_f64 v[98:99], v[24:25], v[84:85], -v[0:1]
	s_waitcnt lgkmcnt(8)
	v_mul_f64 v[0:1], v[30:31], v[78:79]
	v_fma_f64 v[102:103], v[28:29], v[76:77], -v[0:1]
	v_mul_f64 v[88:89], v[16:17], v[82:83]
	v_accvgpr_write_b32 a135, v83
	v_accvgpr_write_b32 a134, v82
	v_accvgpr_write_b32 a133, v81
	v_accvgpr_write_b32 a132, v80
	v_fmac_f64_e32 v[88:89], v[18:19], v[80:81]
	s_waitcnt vmcnt(8) lgkmcnt(7)
	v_mul_f64 v[0:1], v[34:35], v[120:121]
	v_fma_f64 v[74:75], v[32:33], v[118:119], -v[0:1]
	s_waitcnt vmcnt(6) lgkmcnt(6)
	v_mul_f64 v[0:1], v[38:39], v[128:129]
	v_fma_f64 v[80:81], v[36:37], v[126:127], -v[0:1]
	s_waitcnt vmcnt(5) lgkmcnt(5)
	v_mul_f64 v[0:1], v[42:43], v[124:125]
	v_accvgpr_write_b32 a58, v84
	v_fma_f64 v[82:83], v[40:41], v[122:123], -v[0:1]
	s_waitcnt lgkmcnt(4)
	v_mul_f64 v[0:1], v[46:47], v[116:117]
	v_accvgpr_write_b32 a123, v61
	v_mul_f64 v[94:95], v[24:25], v[86:87]
	v_accvgpr_write_b32 a59, v85
	v_accvgpr_write_b32 a60, v86
	;; [unrolled: 1-line block ×3, first 2 shown]
	v_fma_f64 v[86:87], v[44:45], v[114:115], -v[0:1]
	v_accvgpr_write_b32 a95, v65
	v_accvgpr_write_b32 a122, v60
	v_accvgpr_write_b32 a121, v59
	v_accvgpr_write_b32 a120, v58
	s_waitcnt vmcnt(4) lgkmcnt(3)
	v_mul_f64 v[0:1], v[50:51], v[132:133]
	v_fmac_f64_e32 v[202:203], v[10:11], v[58:59]
	v_fma_f64 v[58:59], v[48:49], v[130:131], -v[0:1]
	s_waitcnt vmcnt(3) lgkmcnt(2)
	v_mul_f64 v[0:1], v[54:55], v[164:165]
	v_accvgpr_write_b32 a94, v64
	v_accvgpr_write_b32 a93, v63
	;; [unrolled: 1-line block ×3, first 2 shown]
	v_fma_f64 v[64:65], v[52:53], v[162:163], -v[0:1]
	s_waitcnt vmcnt(2) lgkmcnt(1)
	v_mul_f64 v[0:1], v[70:71], v[160:161]
	v_fmac_f64_e32 v[104:105], v[2:3], v[62:63]
	v_fma_f64 v[66:67], v[68:69], v[158:159], -v[0:1]
	v_mul_f64 v[62:63], v[68:69], v[160:161]
	s_waitcnt vmcnt(1) lgkmcnt(0)
	v_mul_f64 v[0:1], v[110:111], v[154:155]
	v_fmac_f64_e32 v[62:63], v[70:71], v[158:159]
	v_fma_f64 v[70:71], v[108:109], v[152:153], -v[0:1]
	ds_read_b128 v[0:3], v224 offset:9856
	v_accvgpr_write_b32 a131, v79
	v_mul_f64 v[100:101], v[28:29], v[78:79]
	v_accvgpr_write_b32 a130, v78
	v_accvgpr_write_b32 a129, v77
	;; [unrolled: 1-line block ×3, first 2 shown]
	v_mul_f64 v[78:79], v[40:41], v[124:125]
	s_waitcnt vmcnt(0) lgkmcnt(0)
	v_mul_f64 v[4:5], v[2:3], v[168:169]
	v_fmac_f64_e32 v[78:79], v[42:43], v[122:123]
	v_fma_f64 v[42:43], v[0:1], v[166:167], -v[4:5]
	v_add_co_u32_e64 v4, s[2:3], s13, v112
	v_addc_co_u32_e64 v5, s[2:3], 0, v113, s[2:3]
	global_load_dwordx4 v[8:11], v[4:5], off offset:16
	v_mul_f64 v[40:41], v[0:1], v[168:169]
	v_fmac_f64_e32 v[40:41], v[2:3], v[166:167]
	ds_read_b128 v[0:3], v224 offset:16128
	v_accvgpr_write_b32 a66, v162
	v_accvgpr_write_b32 a54, v166
	v_fmac_f64_e32 v[200:201], v[6:7], v[72:73]
	v_fmac_f64_e32 v[94:95], v[26:27], v[84:85]
	v_mul_f64 v[84:85], v[44:45], v[116:117]
	v_mul_f64 v[60:61], v[52:53], v[164:165]
	v_accvgpr_write_b32 a67, v163
	v_accvgpr_write_b32 a68, v164
	;; [unrolled: 1-line block ×6, first 2 shown]
	global_load_dwordx4 v[164:167], v[4:5], off offset:48
	v_fmac_f64_e32 v[84:85], v[46:47], v[114:115]
	v_mul_f64 v[56:57], v[48:49], v[132:133]
	v_fmac_f64_e32 v[56:57], v[50:51], v[130:131]
	v_fmac_f64_e32 v[60:61], v[54:55], v[162:163]
	v_mul_f64 v[208:209], v[12:13], v[236:237]
	v_fmac_f64_e32 v[208:209], v[14:15], v[234:235]
	v_fmac_f64_e32 v[100:101], v[30:31], v[76:77]
	v_mul_f64 v[72:73], v[32:33], v[120:121]
	v_mul_f64 v[76:77], v[36:37], v[128:129]
	v_fmac_f64_e32 v[72:73], v[34:35], v[118:119]
	v_fmac_f64_e32 v[76:77], v[38:39], v[126:127]
	v_accvgpr_write_b32 a18, v118
	v_accvgpr_write_b32 a42, v114
	v_mul_f64 v[68:69], v[108:109], v[154:155]
	s_mov_b32 s4, 0x134454ff
	v_accvgpr_read_b32 v156, a14
	v_accvgpr_write_b32 a19, v119
	v_accvgpr_write_b32 a20, v120
	;; [unrolled: 1-line block ×7, first 2 shown]
	v_fmac_f64_e32 v[68:69], v[110:111], v[152:153]
	v_add_f64 v[108:109], v[104:105], -v[200:201]
	v_add_f64 v[110:111], v[208:209], -v[202:203]
	s_mov_b32 s5, 0x3fee6f0e
	v_add_f64 v[116:117], v[104:105], -v[208:209]
	s_mov_b32 s15, 0xbfee6f0e
	s_mov_b32 s14, s4
	v_add_f64 v[120:121], v[106:107], -v[210:211]
	v_accvgpr_write_b32 a15, v123
	v_accvgpr_write_b32 a16, v124
	;; [unrolled: 1-line block ×3, first 2 shown]
	v_add_f64 v[114:115], v[108:109], v[110:111]
	v_add_f64 v[118:119], v[200:201], -v[202:203]
	s_mov_b32 s19, 0xbfe2cf23
	v_add_f64 v[122:123], v[204:205], -v[206:207]
	v_accvgpr_read_b32 v157, a4
	v_accvgpr_write_b32 a136, v216
	v_accvgpr_write_b32 a137, v217
	;; [unrolled: 1-line block ×24, first 2 shown]
	s_waitcnt vmcnt(1) lgkmcnt(0)
	v_mul_f64 v[6:7], v[2:3], v[10:11]
	v_mul_f64 v[44:45], v[0:1], v[10:11]
	v_accvgpr_write_b32 a49, v11
	v_fma_f64 v[46:47], v[0:1], v[8:9], -v[6:7]
	v_accvgpr_write_b32 a48, v10
	v_accvgpr_write_b32 a47, v9
	;; [unrolled: 1-line block ×3, first 2 shown]
	v_fmac_f64_e32 v[44:45], v[2:3], v[8:9]
	global_load_dwordx4 v[8:11], v[4:5], off offset:32
	ds_read_b128 v[0:3], v224 offset:22400
	v_accvgpr_write_b32 a36, v132
	v_accvgpr_write_b32 a37, v133
	;; [unrolled: 1-line block ×8, first 2 shown]
	s_waitcnt vmcnt(0) lgkmcnt(0)
	v_mul_f64 v[6:7], v[2:3], v[10:11]
	v_mul_f64 v[48:49], v[0:1], v[10:11]
	v_fma_f64 v[50:51], v[0:1], v[8:9], -v[6:7]
	v_fmac_f64_e32 v[48:49], v[2:3], v[8:9]
	ds_read_b128 v[0:3], v224 offset:28672
	v_accvgpr_write_b32 a41, v11
	v_accvgpr_write_b32 a40, v10
	;; [unrolled: 1-line block ×4, first 2 shown]
	s_waitcnt lgkmcnt(0)
	v_mul_f64 v[4:5], v[2:3], v[166:167]
	v_fma_f64 v[54:55], v[0:1], v[164:165], -v[4:5]
	v_mul_f64 v[52:53], v[0:1], v[166:167]
	v_accvgpr_read_b32 v0, a75
	v_lshlrev_b32_e32 v0, 4, v0
	v_add_co_u32_e64 v6, s[2:3], s12, v0
	v_addc_co_u32_e64 v7, s[2:3], 0, v212, s[2:3]
	v_add_co_u32_e64 v0, s[2:3], s20, v6
	v_addc_co_u32_e64 v1, s[2:3], 0, v7, s[2:3]
	global_load_dwordx4 v[168:171], v[0:1], off offset:2112
	v_fmac_f64_e32 v[52:53], v[2:3], v[164:165]
	ds_read_b128 v[0:3], v224 offset:10752
	s_waitcnt vmcnt(0) lgkmcnt(0)
	v_mul_f64 v[4:5], v[2:3], v[170:171]
	v_fma_f64 v[12:13], v[0:1], v[168:169], -v[4:5]
	v_add_co_u32_e64 v4, s[2:3], s13, v6
	v_addc_co_u32_e64 v5, s[2:3], 0, v7, s[2:3]
	global_load_dwordx4 v[172:175], v[4:5], off offset:16
	global_load_dwordx4 v[176:179], v[4:5], off offset:32
	global_load_dwordx4 v[180:183], v[4:5], off offset:48
	v_mul_f64 v[8:9], v[0:1], v[170:171]
	v_fmac_f64_e32 v[8:9], v[2:3], v[168:169]
	ds_read_b128 v[0:3], v224 offset:17024
	s_waitcnt vmcnt(2) lgkmcnt(0)
	v_mul_f64 v[6:7], v[2:3], v[174:175]
	v_mul_f64 v[10:11], v[0:1], v[174:175]
	v_fma_f64 v[18:19], v[0:1], v[172:173], -v[6:7]
	v_fmac_f64_e32 v[10:11], v[2:3], v[172:173]
	ds_read_b128 v[0:3], v224 offset:23296
	s_waitcnt vmcnt(1) lgkmcnt(0)
	v_mul_f64 v[6:7], v[2:3], v[178:179]
	v_mul_f64 v[14:15], v[0:1], v[178:179]
	v_fma_f64 v[26:27], v[0:1], v[176:177], -v[6:7]
	v_fmac_f64_e32 v[14:15], v[2:3], v[176:177]
	ds_read_b128 v[0:3], v224 offset:29568
	s_waitcnt vmcnt(0) lgkmcnt(0)
	v_mul_f64 v[4:5], v[2:3], v[182:183]
	v_fma_f64 v[30:31], v[0:1], v[180:181], -v[4:5]
	v_mul_f64 v[20:21], v[0:1], v[182:183]
	v_accvgpr_read_b32 v0, a4
	v_add_co_u32_e64 v6, s[2:3], s12, v0
	v_addc_co_u32_e64 v7, s[2:3], 0, v212, s[2:3]
	v_add_co_u32_e64 v0, s[2:3], s20, v6
	v_addc_co_u32_e64 v1, s[2:3], 0, v7, s[2:3]
	global_load_dwordx4 v[184:187], v[0:1], off offset:2112
	v_fmac_f64_e32 v[20:21], v[2:3], v[180:181]
	ds_read_b128 v[0:3], v224 offset:11648
	v_accvgpr_write_b32 a4, v214
	s_waitcnt vmcnt(0) lgkmcnt(0)
	v_mul_f64 v[4:5], v[2:3], v[186:187]
	v_fma_f64 v[24:25], v[0:1], v[184:185], -v[4:5]
	v_add_co_u32_e64 v4, s[2:3], s13, v6
	v_addc_co_u32_e64 v5, s[2:3], 0, v7, s[2:3]
	global_load_dwordx4 v[188:191], v[4:5], off offset:16
	global_load_dwordx4 v[192:195], v[4:5], off offset:32
	;; [unrolled: 1-line block ×3, first 2 shown]
	v_mul_f64 v[16:17], v[0:1], v[186:187]
	v_fmac_f64_e32 v[16:17], v[2:3], v[184:185]
	ds_read_b128 v[0:3], v224 offset:17920
	s_mov_b32 s2, 0x4755a5e
	s_mov_b32 s3, 0x3fe2cf23
	;; [unrolled: 1-line block ×5, first 2 shown]
	s_waitcnt vmcnt(2) lgkmcnt(0)
	v_mul_f64 v[6:7], v[2:3], v[190:191]
	v_mul_f64 v[22:23], v[0:1], v[190:191]
	v_fma_f64 v[32:33], v[0:1], v[188:189], -v[6:7]
	v_fmac_f64_e32 v[22:23], v[2:3], v[188:189]
	ds_read_b128 v[0:3], v224 offset:24192
	s_waitcnt vmcnt(1) lgkmcnt(0)
	v_mul_f64 v[6:7], v[2:3], v[194:195]
	v_mul_f64 v[28:29], v[0:1], v[194:195]
	v_fma_f64 v[36:37], v[0:1], v[192:193], -v[6:7]
	v_fmac_f64_e32 v[28:29], v[2:3], v[192:193]
	ds_read_b128 v[0:3], v224 offset:30464
	s_waitcnt vmcnt(0) lgkmcnt(0)
	v_mul_f64 v[4:5], v[2:3], v[198:199]
	v_mul_f64 v[34:35], v[0:1], v[198:199]
	v_fma_f64 v[38:39], v[0:1], v[196:197], -v[4:5]
	v_fmac_f64_e32 v[34:35], v[2:3], v[196:197]
	ds_read_b128 v[0:3], v224
	s_waitcnt lgkmcnt(0)
	v_add_f64 v[4:5], v[0:1], v[106:107]
	v_add_f64 v[6:7], v[2:3], v[104:105]
	v_add_f64 v[4:5], v[4:5], v[204:205]
	v_add_f64 v[6:7], v[6:7], v[200:201]
	v_add_f64 v[4:5], v[4:5], v[206:207]
	v_add_f64 v[6:7], v[6:7], v[202:203]
	v_add_f64 v[4:5], v[4:5], v[210:211]
	v_add_f64 v[6:7], v[6:7], v[208:209]
	ds_write_b128 v224, v[4:7]
	v_add_f64 v[4:5], v[106:107], -v[204:205]
	v_add_f64 v[6:7], v[210:211], -v[206:207]
	v_add_f64 v[112:113], v[4:5], v[6:7]
	v_add_f64 v[4:5], v[204:205], v[206:207]
	;; [unrolled: 1-line block ×3, first 2 shown]
	v_fma_f64 v[4:5], -0.5, v[4:5], v[0:1]
	v_fma_f64 v[6:7], -0.5, v[6:7], v[2:3]
	v_fma_f64 v[108:109], s[4:5], v[116:117], v[4:5]
	v_fma_f64 v[110:111], s[14:15], v[120:121], v[6:7]
	v_fmac_f64_e32 v[108:109], s[2:3], v[118:119]
	v_fmac_f64_e32 v[110:111], s[18:19], v[122:123]
	;; [unrolled: 1-line block ×4, first 2 shown]
	ds_write_b128 v224, v[108:111] offset:6272
	v_add_f64 v[108:109], v[106:107], v[210:211]
	v_fmac_f64_e32 v[0:1], -0.5, v[108:109]
	v_add_f64 v[106:107], v[204:205], -v[106:107]
	v_add_f64 v[108:109], v[206:207], -v[210:211]
	v_add_f64 v[108:109], v[106:107], v[108:109]
	v_add_f64 v[106:107], v[104:105], v[208:209]
	v_fmac_f64_e32 v[2:3], -0.5, v[106:107]
	v_add_f64 v[104:105], v[200:201], -v[104:105]
	v_add_f64 v[106:107], v[202:203], -v[208:209]
	v_add_f64 v[110:111], v[104:105], v[106:107]
	v_fma_f64 v[104:105], s[14:15], v[118:119], v[0:1]
	v_fma_f64 v[106:107], s[4:5], v[122:123], v[2:3]
	v_fmac_f64_e32 v[0:1], s[4:5], v[118:119]
	v_fmac_f64_e32 v[2:3], s[14:15], v[122:123]
	;; [unrolled: 1-line block ×6, first 2 shown]
	ds_write_b128 v224, v[0:3] offset:18816
	ds_read_b128 v[0:3], v224 offset:896
	ds_read_b128 v[200:203], v224 offset:5376
	v_fmac_f64_e32 v[4:5], s[14:15], v[116:117]
	v_fmac_f64_e32 v[6:7], s[4:5], v[120:121]
	v_fmac_f64_e32 v[4:5], s[18:19], v[118:119]
	v_fmac_f64_e32 v[6:7], s[2:3], v[122:123]
	v_fmac_f64_e32 v[4:5], s[12:13], v[112:113]
	v_fmac_f64_e32 v[6:7], s[12:13], v[114:115]
	ds_write_b128 v224, v[4:7] offset:25088
	s_waitcnt lgkmcnt(2)
	v_add_f64 v[4:5], v[0:1], v[90:91]
	v_add_f64 v[6:7], v[2:3], v[88:89]
	v_add_f64 v[4:5], v[4:5], v[96:97]
	v_add_f64 v[6:7], v[6:7], v[92:93]
	v_add_f64 v[4:5], v[4:5], v[98:99]
	v_add_f64 v[6:7], v[6:7], v[94:95]
	v_add_f64 v[4:5], v[4:5], v[102:103]
	v_add_f64 v[6:7], v[6:7], v[100:101]
	v_fmac_f64_e32 v[104:105], s[2:3], v[116:117]
	v_fmac_f64_e32 v[106:107], s[18:19], v[120:121]
	ds_write_b128 v224, v[4:7] offset:896
	v_add_f64 v[4:5], v[90:91], -v[96:97]
	v_add_f64 v[6:7], v[102:103], -v[98:99]
	v_fmac_f64_e32 v[104:105], s[12:13], v[108:109]
	v_fmac_f64_e32 v[106:107], s[12:13], v[110:111]
	v_add_f64 v[108:109], v[4:5], v[6:7]
	v_add_f64 v[4:5], v[96:97], v[98:99]
	v_add_f64 v[6:7], v[92:93], v[94:95]
	ds_write_b128 v224, v[104:107] offset:12544
	v_fma_f64 v[4:5], -0.5, v[4:5], v[0:1]
	v_fma_f64 v[6:7], -0.5, v[6:7], v[2:3]
	v_add_f64 v[104:105], v[88:89], -v[92:93]
	v_add_f64 v[106:107], v[100:101], -v[94:95]
	v_add_f64 v[112:113], v[88:89], -v[100:101]
	v_add_f64 v[116:117], v[90:91], -v[102:103]
	v_add_f64 v[110:111], v[104:105], v[106:107]
	v_add_f64 v[114:115], v[92:93], -v[94:95]
	v_fma_f64 v[104:105], s[4:5], v[112:113], v[4:5]
	v_fma_f64 v[106:107], s[14:15], v[116:117], v[6:7]
	v_add_f64 v[118:119], v[96:97], -v[98:99]
	v_fmac_f64_e32 v[104:105], s[2:3], v[114:115]
	v_fmac_f64_e32 v[106:107], s[18:19], v[118:119]
	v_fmac_f64_e32 v[104:105], s[12:13], v[108:109]
	v_fmac_f64_e32 v[106:107], s[12:13], v[110:111]
	ds_write_b128 v224, v[104:107] offset:7168
	v_add_f64 v[104:105], v[90:91], v[102:103]
	v_add_f64 v[90:91], v[96:97], -v[90:91]
	v_add_f64 v[96:97], v[98:99], -v[102:103]
	v_add_f64 v[96:97], v[90:91], v[96:97]
	v_add_f64 v[90:91], v[88:89], v[100:101]
	v_fmac_f64_e32 v[0:1], -0.5, v[104:105]
	v_fmac_f64_e32 v[2:3], -0.5, v[90:91]
	v_add_f64 v[88:89], v[92:93], -v[88:89]
	v_add_f64 v[90:91], v[94:95], -v[100:101]
	v_add_f64 v[92:93], v[88:89], v[90:91]
	v_fma_f64 v[88:89], s[14:15], v[114:115], v[0:1]
	v_fma_f64 v[90:91], s[4:5], v[118:119], v[2:3]
	v_fmac_f64_e32 v[0:1], s[4:5], v[114:115]
	v_fmac_f64_e32 v[2:3], s[14:15], v[118:119]
	v_fmac_f64_e32 v[0:1], s[18:19], v[112:113]
	v_fmac_f64_e32 v[2:3], s[2:3], v[116:117]
	v_fmac_f64_e32 v[0:1], s[12:13], v[96:97]
	v_fmac_f64_e32 v[2:3], s[12:13], v[92:93]
	ds_write_b128 v224, v[0:3] offset:19712
	ds_read_b128 v[0:3], v224 offset:1792
	v_fmac_f64_e32 v[4:5], s[14:15], v[112:113]
	v_fmac_f64_e32 v[6:7], s[4:5], v[116:117]
	v_fmac_f64_e32 v[4:5], s[18:19], v[114:115]
	v_fmac_f64_e32 v[6:7], s[2:3], v[118:119]
	v_fmac_f64_e32 v[4:5], s[12:13], v[108:109]
	v_fmac_f64_e32 v[6:7], s[12:13], v[110:111]
	ds_write_b128 v224, v[4:7] offset:25984
	s_waitcnt lgkmcnt(1)
	v_add_f64 v[4:5], v[0:1], v[74:75]
	v_add_f64 v[6:7], v[2:3], v[72:73]
	v_add_f64 v[4:5], v[4:5], v[80:81]
	v_add_f64 v[6:7], v[6:7], v[76:77]
	v_add_f64 v[4:5], v[4:5], v[82:83]
	v_add_f64 v[6:7], v[6:7], v[78:79]
	v_add_f64 v[4:5], v[4:5], v[86:87]
	v_add_f64 v[6:7], v[6:7], v[84:85]
	v_fmac_f64_e32 v[88:89], s[2:3], v[112:113]
	v_fmac_f64_e32 v[90:91], s[18:19], v[116:117]
	ds_write_b128 v224, v[4:7] offset:1792
	v_add_f64 v[4:5], v[74:75], -v[80:81]
	v_add_f64 v[6:7], v[86:87], -v[82:83]
	v_fmac_f64_e32 v[88:89], s[12:13], v[96:97]
	v_fmac_f64_e32 v[90:91], s[12:13], v[92:93]
	v_add_f64 v[92:93], v[4:5], v[6:7]
	v_add_f64 v[4:5], v[80:81], v[82:83]
	v_add_f64 v[6:7], v[76:77], v[78:79]
	ds_write_b128 v224, v[88:91] offset:13440
	v_fma_f64 v[4:5], -0.5, v[4:5], v[0:1]
	v_fma_f64 v[6:7], -0.5, v[6:7], v[2:3]
	v_add_f64 v[88:89], v[72:73], -v[76:77]
	v_add_f64 v[90:91], v[84:85], -v[78:79]
	v_add_f64 v[96:97], v[72:73], -v[84:85]
	v_add_f64 v[100:101], v[74:75], -v[86:87]
	v_add_f64 v[94:95], v[88:89], v[90:91]
	v_add_f64 v[98:99], v[76:77], -v[78:79]
	v_fma_f64 v[88:89], s[4:5], v[96:97], v[4:5]
	v_fma_f64 v[90:91], s[14:15], v[100:101], v[6:7]
	v_add_f64 v[102:103], v[80:81], -v[82:83]
	v_fmac_f64_e32 v[88:89], s[2:3], v[98:99]
	v_fmac_f64_e32 v[90:91], s[18:19], v[102:103]
	v_fmac_f64_e32 v[88:89], s[12:13], v[92:93]
	v_fmac_f64_e32 v[90:91], s[12:13], v[94:95]
	ds_write_b128 v224, v[88:91] offset:8064
	v_add_f64 v[88:89], v[74:75], v[86:87]
	v_add_f64 v[74:75], v[80:81], -v[74:75]
	v_add_f64 v[80:81], v[82:83], -v[86:87]
	v_add_f64 v[80:81], v[74:75], v[80:81]
	v_add_f64 v[74:75], v[72:73], v[84:85]
	v_fmac_f64_e32 v[0:1], -0.5, v[88:89]
	v_fmac_f64_e32 v[2:3], -0.5, v[74:75]
	v_add_f64 v[72:73], v[76:77], -v[72:73]
	v_add_f64 v[74:75], v[78:79], -v[84:85]
	v_add_f64 v[76:77], v[72:73], v[74:75]
	v_fma_f64 v[72:73], s[14:15], v[98:99], v[0:1]
	v_fma_f64 v[74:75], s[4:5], v[102:103], v[2:3]
	v_fmac_f64_e32 v[0:1], s[4:5], v[98:99]
	v_fmac_f64_e32 v[2:3], s[14:15], v[102:103]
	v_fmac_f64_e32 v[0:1], s[18:19], v[96:97]
	v_fmac_f64_e32 v[2:3], s[2:3], v[100:101]
	v_fmac_f64_e32 v[0:1], s[12:13], v[80:81]
	v_fmac_f64_e32 v[2:3], s[12:13], v[76:77]
	ds_write_b128 v224, v[0:3] offset:20608
	;; [unrolled: 63-line block ×4, first 2 shown]
	ds_read_b128 v[0:3], v224 offset:4480
	v_fmac_f64_e32 v[4:5], s[14:15], v[64:65]
	v_fmac_f64_e32 v[6:7], s[4:5], v[68:69]
	;; [unrolled: 1-line block ×6, first 2 shown]
	ds_write_b128 v224, v[4:7] offset:28672
	s_waitcnt lgkmcnt(1)
	v_add_f64 v[4:5], v[0:1], v[12:13]
	v_add_f64 v[6:7], v[2:3], v[8:9]
	;; [unrolled: 1-line block ×8, first 2 shown]
	v_fmac_f64_e32 v[40:41], s[2:3], v[64:65]
	v_fmac_f64_e32 v[42:43], s[18:19], v[68:69]
	ds_write_b128 v224, v[4:7] offset:4480
	v_add_f64 v[4:5], v[12:13], -v[18:19]
	v_add_f64 v[6:7], v[30:31], -v[26:27]
	v_fmac_f64_e32 v[40:41], s[12:13], v[46:47]
	v_fmac_f64_e32 v[42:43], s[12:13], v[44:45]
	v_add_f64 v[44:45], v[4:5], v[6:7]
	v_add_f64 v[4:5], v[18:19], v[26:27]
	;; [unrolled: 1-line block ×3, first 2 shown]
	ds_write_b128 v224, v[40:43] offset:16128
	v_fma_f64 v[4:5], -0.5, v[4:5], v[0:1]
	v_fma_f64 v[6:7], -0.5, v[6:7], v[2:3]
	v_add_f64 v[40:41], v[8:9], -v[10:11]
	v_add_f64 v[42:43], v[20:21], -v[14:15]
	;; [unrolled: 1-line block ×4, first 2 shown]
	v_add_f64 v[46:47], v[40:41], v[42:43]
	v_add_f64 v[50:51], v[10:11], -v[14:15]
	v_fma_f64 v[40:41], s[4:5], v[48:49], v[4:5]
	v_fma_f64 v[42:43], s[14:15], v[52:53], v[6:7]
	v_add_f64 v[54:55], v[18:19], -v[26:27]
	v_fmac_f64_e32 v[40:41], s[2:3], v[50:51]
	v_fmac_f64_e32 v[42:43], s[18:19], v[54:55]
	;; [unrolled: 1-line block ×4, first 2 shown]
	ds_write_b128 v224, v[40:43] offset:10752
	v_add_f64 v[40:41], v[12:13], v[30:31]
	v_fmac_f64_e32 v[0:1], -0.5, v[40:41]
	v_add_f64 v[12:13], v[18:19], -v[12:13]
	v_add_f64 v[18:19], v[26:27], -v[30:31]
	v_add_f64 v[18:19], v[12:13], v[18:19]
	v_fma_f64 v[12:13], s[14:15], v[50:51], v[0:1]
	v_fmac_f64_e32 v[0:1], s[4:5], v[50:51]
	v_fmac_f64_e32 v[12:13], s[2:3], v[48:49]
	;; [unrolled: 1-line block ×5, first 2 shown]
	v_add_f64 v[18:19], v[8:9], v[20:21]
	v_fmac_f64_e32 v[2:3], -0.5, v[18:19]
	v_add_f64 v[8:9], v[10:11], -v[8:9]
	v_add_f64 v[10:11], v[14:15], -v[20:21]
	v_fma_f64 v[14:15], s[4:5], v[54:55], v[2:3]
	v_fmac_f64_e32 v[2:3], s[14:15], v[54:55]
	v_add_f64 v[8:9], v[8:9], v[10:11]
	v_fmac_f64_e32 v[14:15], s[18:19], v[52:53]
	v_fmac_f64_e32 v[2:3], s[2:3], v[52:53]
	;; [unrolled: 1-line block ×4, first 2 shown]
	v_add_f64 v[8:9], v[24:25], -v[32:33]
	v_add_f64 v[10:11], v[38:39], -v[36:37]
	v_add_f64 v[10:11], v[8:9], v[10:11]
	v_add_f64 v[8:9], v[32:33], v[36:37]
	ds_write_b128 v224, v[12:15] offset:17024
	v_fma_f64 v[208:209], -0.5, v[8:9], v[200:201]
	v_add_f64 v[12:13], v[16:17], -v[34:35]
	v_add_f64 v[14:15], v[22:23], -v[28:29]
	v_fma_f64 v[8:9], s[4:5], v[12:13], v[208:209]
	v_fmac_f64_e32 v[208:209], s[14:15], v[12:13]
	v_fmac_f64_e32 v[8:9], s[2:3], v[14:15]
	;; [unrolled: 1-line block ×3, first 2 shown]
	v_add_f64 v[18:19], v[24:25], v[38:39]
	v_fmac_f64_e32 v[8:9], s[12:13], v[10:11]
	v_fmac_f64_e32 v[208:209], s[12:13], v[10:11]
	v_add_f64 v[10:11], v[200:201], v[24:25]
	v_fmac_f64_e32 v[200:201], -0.5, v[18:19]
	v_fma_f64 v[204:205], s[14:15], v[14:15], v[200:201]
	v_fmac_f64_e32 v[200:201], s[4:5], v[14:15]
	v_fmac_f64_e32 v[204:205], s[2:3], v[12:13]
	;; [unrolled: 1-line block ×3, first 2 shown]
	v_add_f64 v[10:11], v[10:11], v[32:33]
	v_add_f64 v[12:13], v[202:203], v[16:17]
	v_add_f64 v[18:19], v[32:33], -v[24:25]
	v_add_f64 v[20:21], v[36:37], -v[38:39]
	v_add_f64 v[10:11], v[10:11], v[36:37]
	v_add_f64 v[12:13], v[12:13], v[22:23]
	;; [unrolled: 1-line block ×6, first 2 shown]
	v_fmac_f64_e32 v[204:205], s[12:13], v[18:19]
	v_fmac_f64_e32 v[200:201], s[12:13], v[18:19]
	v_fma_f64 v[210:211], -0.5, v[10:11], v[202:203]
	v_add_f64 v[18:19], v[24:25], -v[38:39]
	v_add_f64 v[10:11], v[16:17], -v[22:23]
	;; [unrolled: 1-line block ×4, first 2 shown]
	v_add_f64 v[24:25], v[10:11], v[24:25]
	v_fma_f64 v[10:11], s[14:15], v[18:19], v[210:211]
	v_fmac_f64_e32 v[210:211], s[4:5], v[18:19]
	v_fmac_f64_e32 v[10:11], s[18:19], v[20:21]
	;; [unrolled: 1-line block ×5, first 2 shown]
	v_add_f64 v[24:25], v[16:17], v[34:35]
	v_fmac_f64_e32 v[202:203], -0.5, v[24:25]
	v_fmac_f64_e32 v[4:5], s[14:15], v[48:49]
	v_fmac_f64_e32 v[6:7], s[4:5], v[52:53]
	v_add_f64 v[16:17], v[22:23], -v[16:17]
	v_add_f64 v[22:23], v[28:29], -v[34:35]
	v_fma_f64 v[206:207], s[4:5], v[20:21], v[202:203]
	v_fmac_f64_e32 v[202:203], s[14:15], v[20:21]
	s_add_u32 s4, s6, 0x7a80
	v_fmac_f64_e32 v[4:5], s[18:19], v[50:51]
	v_fmac_f64_e32 v[6:7], s[2:3], v[54:55]
	v_add_f64 v[16:17], v[16:17], v[22:23]
	v_fmac_f64_e32 v[206:207], s[18:19], v[18:19]
	v_fmac_f64_e32 v[202:203], s[2:3], v[18:19]
	s_addc_u32 s5, s7, 0
	v_lshlrev_b32_e32 v52, 4, v214
	v_fmac_f64_e32 v[4:5], s[12:13], v[44:45]
	v_fmac_f64_e32 v[6:7], s[12:13], v[46:47]
	v_add_f64 v[14:15], v[14:15], v[34:35]
	v_fmac_f64_e32 v[206:207], s[12:13], v[16:17]
	v_fmac_f64_e32 v[202:203], s[12:13], v[16:17]
	ds_write_b128 v224, v[0:3] offset:23296
	ds_write_b128 v224, v[4:7] offset:29568
	;; [unrolled: 1-line block ×7, first 2 shown]
	s_waitcnt lgkmcnt(0)
	; wave barrier
	s_waitcnt lgkmcnt(0)
	global_load_dwordx4 v[0:3], v52, s[4:5]
	ds_read_b128 v[4:7], v224
	ds_read_b128 v[20:23], v224 offset:1792
	v_add_co_u32_e64 v88, s[2:3], s4, v52
	v_mov_b32_e32 v8, s5
	v_addc_co_u32_e64 v89, s[2:3], 0, v8, s[2:3]
	v_add_co_u32_e64 v92, s[2:3], s20, v88
	v_addc_co_u32_e64 v93, s[2:3], 0, v89, s[2:3]
	s_movk_i32 s2, 0x3000
	v_add_co_u32_e64 v106, s[2:3], s2, v88
	v_addc_co_u32_e64 v107, s[2:3], 0, v89, s[2:3]
	ds_read_b128 v[84:87], v224 offset:5376
	s_movk_i32 s2, 0x5000
	v_add_co_u32_e64 v104, s[2:3], s2, v88
	v_addc_co_u32_e64 v105, s[2:3], 0, v89, s[2:3]
	ds_read_b128 v[12:15], v224 offset:16576
	ds_read_b128 v[16:19], v224 offset:24416
	s_movk_i32 s2, 0x2000
	v_add_co_u32_e64 v56, s[2:3], s2, v88
	v_addc_co_u32_e64 v57, s[2:3], 0, v89, s[2:3]
	ds_read_b128 v[36:39], v224 offset:2688
	s_movk_i32 s2, 0x4000
	v_add_co_u32_e64 v68, s[2:3], s2, v88
	v_addc_co_u32_e64 v69, s[2:3], 0, v89, s[2:3]
	ds_read_b128 v[24:27], v224 offset:9632
	ds_read_b128 v[28:31], v224 offset:17472
	;; [unrolled: 1-line block ×3, first 2 shown]
	s_movk_i32 s2, 0x6000
	v_add_co_u32_e64 v72, s[2:3], s2, v88
	v_addc_co_u32_e64 v73, s[2:3], 0, v89, s[2:3]
	ds_read_b128 v[32:35], v224 offset:25312
	ds_read_b128 v[48:51], v224 offset:26208
	;; [unrolled: 1-line block ×7, first 2 shown]
	s_movk_i32 s2, 0x7000
	v_add_co_u32_e64 v108, s[2:3], s2, v88
	v_addc_co_u32_e64 v109, s[2:3], 0, v89, s[2:3]
	ds_read_b128 v[74:77], v224 offset:4480
	ds_read_b128 v[94:97], v224 offset:13216
	;; [unrolled: 1-line block ×4, first 2 shown]
	s_waitcnt vmcnt(0) lgkmcnt(14)
	v_mul_f64 v[8:9], v[6:7], v[2:3]
	v_mul_f64 v[214:215], v[4:5], v[2:3]
	v_fma_f64 v[212:213], v[4:5], v[0:1], -v[8:9]
	v_fmac_f64_e32 v[214:215], v[6:7], v[0:1]
	global_load_dwordx4 v[0:3], v[92:93], off offset:3744
	ds_read_b128 v[4:7], v224 offset:7840
	s_waitcnt vmcnt(0) lgkmcnt(0)
	v_mul_f64 v[8:9], v[6:7], v[2:3]
	v_mul_f64 v[218:219], v[4:5], v[2:3]
	v_fma_f64 v[216:217], v[4:5], v[0:1], -v[8:9]
	v_fmac_f64_e32 v[218:219], v[6:7], v[0:1]
	global_load_dwordx4 v[0:3], v[106:107], off offset:3392
	ds_read_b128 v[4:7], v224 offset:15680
	;; [unrolled: 7-line block ×3, first 2 shown]
	s_waitcnt vmcnt(0) lgkmcnt(0)
	v_mul_f64 v[8:9], v[6:7], v[2:3]
	v_mul_f64 v[250:251], v[4:5], v[2:3]
	v_fma_f64 v[248:249], v[4:5], v[0:1], -v[8:9]
	v_fmac_f64_e32 v[250:251], v[6:7], v[0:1]
	global_load_dwordx4 v[0:3], v52, s[4:5] offset:896
	ds_read_b128 v[4:7], v224 offset:896
	s_waitcnt vmcnt(0) lgkmcnt(0)
	v_mul_f64 v[8:9], v[6:7], v[2:3]
	v_mul_f64 v[254:255], v[4:5], v[2:3]
	v_fma_f64 v[252:253], v[4:5], v[0:1], -v[8:9]
	v_fmac_f64_e32 v[254:255], v[6:7], v[0:1]
	global_load_dwordx4 v[4:7], v[56:57], off offset:544
	ds_read_b128 v[8:11], v224 offset:8736
	s_waitcnt vmcnt(0) lgkmcnt(0)
	v_mul_f64 v[0:1], v[10:11], v[6:7]
	v_mul_f64 v[2:3], v[8:9], v[6:7]
	v_fma_f64 v[0:1], v[8:9], v[4:5], -v[0:1]
	v_fmac_f64_e32 v[2:3], v[10:11], v[4:5]
	global_load_dwordx4 v[8:11], v[68:69], off offset:192
	s_waitcnt vmcnt(0)
	v_mul_f64 v[4:5], v[14:15], v[10:11]
	v_mul_f64 v[6:7], v[12:13], v[10:11]
	v_fma_f64 v[4:5], v[12:13], v[8:9], -v[4:5]
	v_fmac_f64_e32 v[6:7], v[14:15], v[8:9]
	global_load_dwordx4 v[12:15], v[104:105], off offset:3936
	s_waitcnt vmcnt(0)
	v_mul_f64 v[8:9], v[18:19], v[14:15]
	v_mul_f64 v[10:11], v[16:17], v[14:15]
	v_fma_f64 v[8:9], v[16:17], v[12:13], -v[8:9]
	v_fmac_f64_e32 v[10:11], v[18:19], v[12:13]
	global_load_dwordx4 v[16:19], v52, s[4:5] offset:1792
	s_waitcnt vmcnt(0)
	v_mul_f64 v[12:13], v[22:23], v[18:19]
	v_mul_f64 v[14:15], v[20:21], v[18:19]
	v_fma_f64 v[12:13], v[20:21], v[16:17], -v[12:13]
	v_fmac_f64_e32 v[14:15], v[22:23], v[16:17]
	global_load_dwordx4 v[20:23], v[56:57], off offset:1440
	s_waitcnt vmcnt(0)
	v_mul_f64 v[16:17], v[26:27], v[22:23]
	v_mul_f64 v[18:19], v[24:25], v[22:23]
	v_fma_f64 v[16:17], v[24:25], v[20:21], -v[16:17]
	v_fmac_f64_e32 v[18:19], v[26:27], v[20:21]
	global_load_dwordx4 v[24:27], v[68:69], off offset:1088
	;; [unrolled: 6-line block ×3, first 2 shown]
	s_waitcnt vmcnt(0)
	v_mul_f64 v[24:25], v[34:35], v[30:31]
	v_mul_f64 v[26:27], v[32:33], v[30:31]
	v_fma_f64 v[24:25], v[32:33], v[28:29], -v[24:25]
	v_fmac_f64_e32 v[26:27], v[34:35], v[28:29]
	global_load_dwordx4 v[32:35], v52, s[4:5] offset:2688
	s_waitcnt vmcnt(0)
	v_mul_f64 v[28:29], v[38:39], v[34:35]
	v_mul_f64 v[30:31], v[36:37], v[34:35]
	v_fma_f64 v[28:29], v[36:37], v[32:33], -v[28:29]
	v_fmac_f64_e32 v[30:31], v[38:39], v[32:33]
	global_load_dwordx4 v[36:39], v[56:57], off offset:2336
	s_waitcnt vmcnt(0)
	v_mul_f64 v[32:33], v[42:43], v[38:39]
	v_mul_f64 v[34:35], v[40:41], v[38:39]
	v_fma_f64 v[32:33], v[40:41], v[36:37], -v[32:33]
	v_fmac_f64_e32 v[34:35], v[42:43], v[36:37]
	global_load_dwordx4 v[40:43], v[68:69], off offset:1984
	;; [unrolled: 6-line block ×3, first 2 shown]
	s_waitcnt vmcnt(0)
	v_mul_f64 v[40:41], v[50:51], v[46:47]
	v_mul_f64 v[42:43], v[48:49], v[46:47]
	v_fma_f64 v[40:41], v[48:49], v[44:45], -v[40:41]
	v_fmac_f64_e32 v[42:43], v[50:51], v[44:45]
	global_load_dwordx4 v[48:51], v52, s[4:5] offset:3584
	ds_read_b128 v[52:55], v224 offset:3584
	s_waitcnt vmcnt(0) lgkmcnt(0)
	v_mul_f64 v[44:45], v[54:55], v[50:51]
	v_mul_f64 v[46:47], v[52:53], v[50:51]
	v_fma_f64 v[44:45], v[52:53], v[48:49], -v[44:45]
	v_fmac_f64_e32 v[46:47], v[54:55], v[48:49]
	global_load_dwordx4 v[52:55], v[56:57], off offset:3232
	ds_read_b128 v[56:59], v224 offset:11424
	s_waitcnt vmcnt(0) lgkmcnt(0)
	v_mul_f64 v[48:49], v[58:59], v[54:55]
	v_mul_f64 v[50:51], v[56:57], v[54:55]
	v_fma_f64 v[48:49], v[56:57], v[52:53], -v[48:49]
	v_fmac_f64_e32 v[50:51], v[58:59], v[52:53]
	global_load_dwordx4 v[56:59], v[68:69], off offset:2880
	s_waitcnt vmcnt(0)
	v_mul_f64 v[52:53], v[62:63], v[58:59]
	v_mul_f64 v[54:55], v[60:61], v[58:59]
	v_fma_f64 v[52:53], v[60:61], v[56:57], -v[52:53]
	v_fmac_f64_e32 v[54:55], v[62:63], v[56:57]
	global_load_dwordx4 v[60:63], v[72:73], off offset:2528
	s_waitcnt vmcnt(0)
	;; [unrolled: 6-line block ×4, first 2 shown]
	v_mul_f64 v[64:65], v[80:81], v[76:77]
	v_mul_f64 v[66:67], v[78:79], v[76:77]
	v_fma_f64 v[64:65], v[78:79], v[74:75], -v[64:65]
	v_fmac_f64_e32 v[66:67], v[80:81], v[74:75]
	global_load_dwordx4 v[74:77], v[68:69], off offset:3776
	ds_read_b128 v[78:81], v224 offset:20160
	s_waitcnt vmcnt(0) lgkmcnt(0)
	v_mul_f64 v[68:69], v[80:81], v[76:77]
	v_fma_f64 v[68:69], v[78:79], v[74:75], -v[68:69]
	v_mul_f64 v[70:71], v[78:79], v[76:77]
	global_load_dwordx4 v[76:79], v[72:73], off offset:3424
	v_fmac_f64_e32 v[70:71], v[80:81], v[74:75]
	ds_read_b128 v[80:83], v224 offset:28000
	s_waitcnt vmcnt(0) lgkmcnt(0)
	v_mul_f64 v[72:73], v[82:83], v[78:79]
	v_mul_f64 v[74:75], v[80:81], v[78:79]
	v_fma_f64 v[72:73], v[80:81], v[76:77], -v[72:73]
	v_fmac_f64_e32 v[74:75], v[82:83], v[76:77]
	global_load_dwordx4 v[80:83], v[92:93], off offset:1280
	s_waitcnt vmcnt(0)
	v_mul_f64 v[76:77], v[86:87], v[82:83]
	v_mul_f64 v[78:79], v[84:85], v[82:83]
	v_fma_f64 v[76:77], v[84:85], v[80:81], -v[76:77]
	v_fmac_f64_e32 v[78:79], v[86:87], v[80:81]
	global_load_dwordx4 v[84:87], v[106:107], off offset:928
	s_waitcnt vmcnt(0)
	;; [unrolled: 6-line block ×3, first 2 shown]
	v_mul_f64 v[84:85], v[100:101], v[96:97]
	v_mul_f64 v[86:87], v[98:99], v[96:97]
	v_fma_f64 v[84:85], v[98:99], v[94:95], -v[84:85]
	v_fmac_f64_e32 v[86:87], v[100:101], v[94:95]
	global_load_dwordx4 v[94:97], v[108:109], off offset:224
	ds_read_b128 v[98:101], v224 offset:28896
	s_waitcnt vmcnt(0) lgkmcnt(0)
	v_mul_f64 v[88:89], v[100:101], v[96:97]
	v_fma_f64 v[88:89], v[98:99], v[94:95], -v[88:89]
	v_mul_f64 v[90:91], v[98:99], v[96:97]
	global_load_dwordx4 v[96:99], v[92:93], off offset:2176
	v_fmac_f64_e32 v[90:91], v[100:101], v[94:95]
	ds_read_b128 v[100:103], v224 offset:6272
	s_waitcnt vmcnt(0) lgkmcnt(0)
	v_mul_f64 v[92:93], v[102:103], v[98:99]
	v_mul_f64 v[94:95], v[100:101], v[98:99]
	v_fma_f64 v[92:93], v[100:101], v[96:97], -v[92:93]
	v_fmac_f64_e32 v[94:95], v[102:103], v[96:97]
	global_load_dwordx4 v[100:103], v[106:107], off offset:1824
	s_waitcnt vmcnt(0)
	v_mul_f64 v[96:97], v[112:113], v[102:103]
	v_mul_f64 v[98:99], v[110:111], v[102:103]
	v_fma_f64 v[96:97], v[110:111], v[100:101], -v[96:97]
	v_fmac_f64_e32 v[98:99], v[112:113], v[100:101]
	global_load_dwordx4 v[110:113], v[104:105], off offset:1472
	s_waitcnt vmcnt(0)
	v_mul_f64 v[100:101], v[116:117], v[112:113]
	v_mul_f64 v[102:103], v[114:115], v[112:113]
	v_fma_f64 v[100:101], v[114:115], v[110:111], -v[100:101]
	v_fmac_f64_e32 v[102:103], v[116:117], v[110:111]
	global_load_dwordx4 v[110:113], v[108:109], off offset:1120
	ds_read_b128 v[114:117], v224 offset:29792
	s_waitcnt vmcnt(0) lgkmcnt(0)
	v_mul_f64 v[118:119], v[116:117], v[112:113]
	v_mul_f64 v[120:121], v[114:115], v[112:113]
	v_fma_f64 v[118:119], v[114:115], v[110:111], -v[118:119]
	v_fmac_f64_e32 v[120:121], v[116:117], v[110:111]
	ds_write_b128 v224, v[212:215]
	ds_write_b128 v224, v[216:219] offset:7840
	ds_write_b128 v224, v[220:223] offset:15680
	;; [unrolled: 1-line block ×31, first 2 shown]
	s_and_saveexec_b64 s[2:3], vcc
	s_cbranch_execz .LBB0_13
; %bb.12:
	buffer_load_dword v4, off, s[36:39], 0  ; 4-byte Folded Reload
	ds_read_b128 v[0:3], v224 offset:7168
	s_waitcnt vmcnt(0)
	global_load_dwordx4 v[4:7], v4, s[4:5]
	s_waitcnt vmcnt(0) lgkmcnt(0)
	v_mul_f64 v[8:9], v[2:3], v[6:7]
	v_mul_f64 v[10:11], v[0:1], v[6:7]
	v_fma_f64 v[8:9], v[0:1], v[4:5], -v[8:9]
	v_fmac_f64_e32 v[10:11], v[2:3], v[4:5]
	global_load_dwordx4 v[4:7], v[106:107], off offset:2720
	ds_read_b128 v[0:3], v224 offset:15008
	ds_write_b128 v224, v[8:11] offset:7168
	s_waitcnt vmcnt(0) lgkmcnt(1)
	v_mul_f64 v[8:9], v[2:3], v[6:7]
	v_mul_f64 v[10:11], v[0:1], v[6:7]
	v_fma_f64 v[8:9], v[0:1], v[4:5], -v[8:9]
	v_fmac_f64_e32 v[10:11], v[2:3], v[4:5]
	global_load_dwordx4 v[4:7], v[104:105], off offset:2368
	ds_read_b128 v[0:3], v224 offset:22848
	ds_write_b128 v224, v[8:11] offset:15008
	;; [unrolled: 8-line block ×3, first 2 shown]
	s_waitcnt vmcnt(0) lgkmcnt(1)
	v_mul_f64 v[8:9], v[2:3], v[6:7]
	v_mul_f64 v[10:11], v[0:1], v[6:7]
	v_fma_f64 v[8:9], v[0:1], v[4:5], -v[8:9]
	v_fmac_f64_e32 v[10:11], v[2:3], v[4:5]
	ds_write_b128 v224, v[8:11] offset:30688
.LBB0_13:
	s_or_b64 exec, exec, s[2:3]
	s_waitcnt lgkmcnt(0)
	; wave barrier
	s_waitcnt lgkmcnt(0)
	ds_read_b128 v[248:251], v224
	ds_read_b128 v[212:215], v224 offset:896
	ds_read_b128 v[252:255], v224 offset:7840
	;; [unrolled: 1-line block ×31, first 2 shown]
	s_and_saveexec_b64 s[2:3], vcc
	s_cbranch_execz .LBB0_15
; %bb.14:
	ds_read_b128 v[204:207], v224 offset:7168
	ds_read_b128 v[200:203], v224 offset:15008
	ds_read_b128 v[208:211], v224 offset:22848
	ds_read_b128 a[26:29], v224 offset:30688
.LBB0_15:
	s_or_b64 exec, exec, s[2:3]
	s_waitcnt lgkmcnt(14)
	v_add_f64 v[92:93], v[80:81], -v[92:93]
	v_add_f64 v[152:153], v[84:85], -v[88:89]
	v_fma_f64 v[124:125], v[80:81], 2.0, -v[92:93]
	v_fma_f64 v[80:81], v[84:85], 2.0, -v[152:153]
	v_add_f64 v[94:95], v[82:83], -v[94:95]
	v_add_f64 v[88:89], v[86:87], -v[90:91]
	;; [unrolled: 1-line block ×3, first 2 shown]
	v_fma_f64 v[126:127], v[82:83], 2.0, -v[94:95]
	v_fma_f64 v[82:83], v[86:87], 2.0, -v[88:89]
	;; [unrolled: 1-line block ×3, first 2 shown]
	v_add_f64 v[90:91], v[94:95], -v[152:153]
	v_add_f64 v[78:79], v[70:71], -v[78:79]
	;; [unrolled: 1-line block ×3, first 2 shown]
	s_waitcnt lgkmcnt(11)
	v_add_f64 v[60:61], v[48:49], -v[60:61]
	s_waitcnt lgkmcnt(9)
	v_add_f64 v[152:153], v[52:53], -v[56:57]
	v_add_f64 v[82:83], v[126:127], -v[82:83]
	;; [unrolled: 1-line block ×3, first 2 shown]
	v_fma_f64 v[64:65], v[64:65], 2.0, -v[124:125]
	v_add_f64 v[74:75], v[78:79], -v[124:125]
	v_add_f64 v[62:63], v[50:51], -v[62:63]
	v_fma_f64 v[124:125], v[48:49], 2.0, -v[60:61]
	v_add_f64 v[56:57], v[54:55], -v[58:59]
	v_fma_f64 v[48:49], v[52:53], 2.0, -v[152:153]
	v_fma_f64 v[86:87], v[126:127], 2.0, -v[82:83]
	v_fma_f64 v[126:127], v[50:51], 2.0, -v[62:63]
	v_fma_f64 v[50:51], v[54:55], 2.0, -v[56:57]
	v_add_f64 v[48:49], v[124:125], -v[48:49]
	v_add_f64 v[50:51], v[126:127], -v[50:51]
	v_fma_f64 v[52:53], v[124:125], 2.0, -v[48:49]
	v_add_f64 v[58:59], v[62:63], -v[152:153]
	v_add_f64 v[46:47], v[38:39], -v[46:47]
	s_waitcnt lgkmcnt(8)
	v_add_f64 v[124:125], v[32:33], -v[40:41]
	s_waitcnt lgkmcnt(3)
	v_add_f64 v[28:29], v[16:17], -v[28:29]
	v_add_f64 v[30:31], v[18:19], -v[30:31]
	s_waitcnt lgkmcnt(1)
	v_add_f64 v[152:153], v[20:21], -v[24:25]
	v_add_f64 v[24:25], v[22:23], -v[26:27]
	;; [unrolled: 1-line block ×6, first 2 shown]
	v_fma_f64 v[54:55], v[126:127], 2.0, -v[50:51]
	v_add_f64 v[40:41], v[34:35], -v[42:43]
	v_fma_f64 v[32:33], v[32:33], 2.0, -v[124:125]
	v_add_f64 v[42:43], v[46:47], -v[124:125]
	v_fma_f64 v[124:125], v[16:17], 2.0, -v[28:29]
	v_fma_f64 v[126:127], v[18:19], 2.0, -v[30:31]
	;; [unrolled: 1-line block ×8, first 2 shown]
	v_add_f64 v[16:17], v[124:125], -v[16:17]
	v_add_f64 v[18:19], v[126:127], -v[18:19]
	;; [unrolled: 1-line block ×6, first 2 shown]
	v_fma_f64 v[20:21], v[124:125], 2.0, -v[16:17]
	v_fma_f64 v[22:23], v[126:127], 2.0, -v[18:19]
	v_add_f64 v[26:27], v[30:31], -v[152:153]
	v_add_f64 v[124:125], v[4:5], -v[12:13]
	;; [unrolled: 1-line block ×3, first 2 shown]
	s_waitcnt lgkmcnt(0)
	v_add_f64 v[152:153], v[0:1], -v[8:9]
	v_add_f64 v[154:155], v[2:3], -v[10:11]
	v_fma_f64 v[248:249], v[104:105], 2.0, -v[100:101]
	v_fma_f64 v[250:251], v[106:107], 2.0, -v[102:103]
	v_add_f64 v[104:105], v[108:109], v[114:115]
	v_add_f64 v[106:107], v[110:111], -v[112:113]
	v_fma_f64 v[112:113], v[212:213], 2.0, -v[120:121]
	v_fma_f64 v[114:115], v[214:215], 2.0, -v[122:123]
	v_add_f64 v[212:213], v[124:125], v[154:155]
	v_add_f64 v[214:215], v[126:127], -v[152:153]
	v_add_f64 v[118:119], v[96:97], -v[216:217]
	;; [unrolled: 1-line block ×3, first 2 shown]
	v_fma_f64 v[4:5], v[4:5], 2.0, -v[124:125]
	v_fma_f64 v[6:7], v[6:7], 2.0, -v[126:127]
	;; [unrolled: 1-line block ×4, first 2 shown]
	v_accvgpr_read_b32 v127, a29
	v_fma_f64 v[2:3], v[2:3], 2.0, -v[154:155]
	v_accvgpr_read_b32 v125, a27
	v_accvgpr_read_b32 v124, a26
	v_add_f64 v[10:11], v[6:7], -v[2:3]
	v_add_f64 v[2:3], v[200:201], -v[124:125]
	s_waitcnt lgkmcnt(0)
	; wave barrier
	buffer_load_dword v124, off, s[36:39], 0 offset:8 ; 4-byte Folded Reload
	v_fma_f64 v[108:109], v[108:109], 2.0, -v[104:105]
	v_fma_f64 v[110:111], v[110:111], 2.0, -v[106:107]
	;; [unrolled: 1-line block ×4, first 2 shown]
	v_add_f64 v[96:97], v[112:113], -v[96:97]
	s_waitcnt vmcnt(0)
	ds_write_b128 v124, v[248:251]
	ds_write_b128 v124, v[108:111] offset:16
	ds_write_b128 v124, v[100:103] offset:32
	;; [unrolled: 1-line block ×3, first 2 shown]
	buffer_load_dword v100, off, s[36:39], 0 offset:12 ; 4-byte Folded Reload
	v_add_f64 v[98:99], v[114:115], -v[98:99]
	v_fma_f64 v[112:113], v[112:113], 2.0, -v[96:97]
	v_fma_f64 v[114:115], v[114:115], 2.0, -v[98:99]
	v_add_f64 v[116:117], v[120:121], v[116:117]
	v_add_f64 v[118:119], v[122:123], -v[118:119]
	v_fma_f64 v[120:121], v[120:121], 2.0, -v[116:117]
	v_fma_f64 v[122:123], v[122:123], 2.0, -v[118:119]
	s_waitcnt vmcnt(0)
	ds_write_b128 v100, v[112:115]
	ds_write_b128 v100, v[120:123] offset:16
	ds_write_b128 v100, v[96:99] offset:32
	;; [unrolled: 1-line block ×3, first 2 shown]
	buffer_load_dword v96, off, s[36:39], 0 offset:16 ; 4-byte Folded Reload
	v_add_f64 v[88:89], v[92:93], v[88:89]
	v_fma_f64 v[92:93], v[92:93], 2.0, -v[88:89]
	v_fma_f64 v[94:95], v[94:95], 2.0, -v[90:91]
	v_add_f64 v[76:77], v[68:69], -v[76:77]
	v_fma_f64 v[68:69], v[68:69], 2.0, -v[76:77]
	s_waitcnt vmcnt(0)
	ds_write_b128 v96, v[84:87]
	ds_write_b128 v96, v[92:95] offset:16
	ds_write_b128 v96, v[80:83] offset:32
	;; [unrolled: 1-line block ×3, first 2 shown]
	buffer_load_dword v80, off, s[36:39], 0 offset:20 ; 4-byte Folded Reload
	v_fma_f64 v[70:71], v[70:71], 2.0, -v[78:79]
	v_fma_f64 v[66:67], v[66:67], 2.0, -v[72:73]
	v_add_f64 v[64:65], v[68:69], -v[64:65]
	v_add_f64 v[66:67], v[70:71], -v[66:67]
	v_fma_f64 v[68:69], v[68:69], 2.0, -v[64:65]
	v_fma_f64 v[70:71], v[70:71], 2.0, -v[66:67]
	v_add_f64 v[72:73], v[76:77], v[72:73]
	v_add_f64 v[56:57], v[60:61], v[56:57]
	v_fma_f64 v[76:77], v[76:77], 2.0, -v[72:73]
	v_fma_f64 v[78:79], v[78:79], 2.0, -v[74:75]
	;; [unrolled: 1-line block ×4, first 2 shown]
	s_waitcnt vmcnt(0)
	ds_write_b128 v80, v[68:71]
	ds_write_b128 v80, v[76:79] offset:16
	ds_write_b128 v80, v[64:67] offset:32
	;; [unrolled: 1-line block ×3, first 2 shown]
	ds_write_b128 v156, v[52:55]
	ds_write_b128 v156, v[60:63] offset:16
	ds_write_b128 v156, v[48:51] offset:32
	ds_write_b128 v156, v[56:59] offset:48
	buffer_load_dword v48, off, s[36:39], 0 offset:24 ; 4-byte Folded Reload
	v_add_f64 v[44:45], v[36:37], -v[44:45]
	v_fma_f64 v[36:37], v[36:37], 2.0, -v[44:45]
	v_fma_f64 v[38:39], v[38:39], 2.0, -v[46:47]
	v_fma_f64 v[34:35], v[34:35], 2.0, -v[40:41]
	v_add_f64 v[32:33], v[36:37], -v[32:33]
	v_add_f64 v[34:35], v[38:39], -v[34:35]
	v_fma_f64 v[36:37], v[36:37], 2.0, -v[32:33]
	v_fma_f64 v[38:39], v[38:39], 2.0, -v[34:35]
	v_add_f64 v[40:41], v[44:45], v[40:41]
	v_add_f64 v[24:25], v[28:29], v[24:25]
	v_fma_f64 v[44:45], v[44:45], 2.0, -v[40:41]
	v_fma_f64 v[46:47], v[46:47], 2.0, -v[42:43]
	;; [unrolled: 1-line block ×4, first 2 shown]
	s_waitcnt vmcnt(0)
	ds_write_b128 v48, v[36:39]
	ds_write_b128 v48, v[44:47] offset:16
	ds_write_b128 v48, v[32:35] offset:32
	;; [unrolled: 1-line block ×3, first 2 shown]
	ds_write_b128 v157, v[20:23]
	ds_write_b128 v157, v[28:31] offset:16
	ds_write_b128 v157, v[16:19] offset:32
	;; [unrolled: 1-line block ×3, first 2 shown]
	buffer_load_dword v16, off, s[36:39], 0 offset:28 ; 4-byte Folded Reload
	v_fma_f64 v[0:1], v[0:1], 2.0, -v[152:153]
	v_add_f64 v[8:9], v[4:5], -v[0:1]
	v_accvgpr_read_b32 v126, a28
	v_fma_f64 v[12:13], v[4:5], 2.0, -v[8:9]
	v_fma_f64 v[14:15], v[6:7], 2.0, -v[10:11]
	v_add_f64 v[0:1], v[204:205], -v[208:209]
	v_add_f64 v[4:5], v[206:207], -v[210:211]
	;; [unrolled: 1-line block ×3, first 2 shown]
	v_add_f64 v[208:209], v[0:1], v[6:7]
	v_add_f64 v[210:211], v[4:5], -v[2:3]
	s_waitcnt vmcnt(0)
	ds_write_b128 v16, v[12:15]
	ds_write_b128 v16, v[216:219] offset:16
	ds_write_b128 v16, v[8:11] offset:32
	;; [unrolled: 1-line block ×3, first 2 shown]
	s_and_saveexec_b64 s[2:3], vcc
	s_cbranch_execz .LBB0_17
; %bb.16:
	v_fma_f64 v[10:11], v[4:5], 2.0, -v[210:211]
	v_fma_f64 v[8:9], v[0:1], 2.0, -v[208:209]
	;; [unrolled: 1-line block ×6, first 2 shown]
	v_add_f64 v[4:5], v[12:13], -v[4:5]
	v_add_f64 v[2:3], v[0:1], -v[2:3]
	v_fma_f64 v[14:15], v[12:13], 2.0, -v[4:5]
	v_fma_f64 v[12:13], v[0:1], 2.0, -v[2:3]
	buffer_load_dword v0, off, s[36:39], 0 offset:4 ; 4-byte Folded Reload
	s_waitcnt vmcnt(0)
	ds_write_b128 v0, v[12:15]
	ds_write_b128 v0, v[8:11] offset:16
	ds_write_b128 v0, v[2:5] offset:32
	;; [unrolled: 1-line block ×3, first 2 shown]
.LBB0_17:
	s_or_b64 exec, exec, s[2:3]
	v_accvgpr_read_b32 v132, a220
	s_waitcnt lgkmcnt(0)
	; wave barrier
	s_waitcnt lgkmcnt(0)
	ds_read_b128 v[16:19], v224
	ds_read_b128 v[12:15], v224 offset:896
	ds_read_b128 v[28:31], v224 offset:8960
	;; [unrolled: 1-line block ×34, first 2 shown]
	s_waitcnt lgkmcnt(12)
	v_mul_f64 v[48:49], v[146:147], v[54:55]
	v_accvgpr_read_b32 v134, a222
	v_accvgpr_read_b32 v135, a223
	v_fma_f64 v[222:223], v[144:145], v[56:57], -v[48:49]
	v_accvgpr_read_b32 v133, a221
	s_waitcnt lgkmcnt(8)
	v_mul_f64 v[48:49], v[134:135], v[62:63]
	v_accvgpr_read_b32 v139, a25
	v_fma_f64 v[156:157], v[132:133], v[64:65], -v[48:49]
	s_waitcnt lgkmcnt(4)
	v_mul_f64 v[48:49], v[150:151], v[70:71]
	v_mul_f64 v[162:163], v[142:143], v[42:43]
	v_accvgpr_read_b32 v138, a24
	v_fma_f64 v[160:161], v[148:149], v[72:73], -v[48:49]
	v_fmac_f64_e32 v[162:163], v[140:141], v[40:41]
	v_mul_f64 v[40:41], v[142:143], v[40:41]
	v_mul_f64 v[48:49], v[146:147], v[52:53]
	v_accvgpr_read_b32 v137, a23
	v_accvgpr_read_b32 v136, a22
	v_fma_f64 v[40:41], v[140:141], v[42:43], -v[40:41]
	v_fmac_f64_e32 v[48:49], v[144:145], v[50:51]
	v_mul_f64 v[42:43], v[146:147], v[50:51]
	v_mul_f64 v[50:51], v[138:139], v[22:23]
	;; [unrolled: 1-line block ×4, first 2 shown]
	v_accvgpr_read_b32 v128, a212
	v_fmac_f64_e32 v[50:51], v[136:137], v[20:21]
	v_mul_f64 v[20:21], v[138:139], v[20:21]
	v_fmac_f64_e32 v[126:127], v[144:145], v[54:55]
	v_fmac_f64_e32 v[226:227], v[136:137], v[28:29]
	v_mul_f64 v[28:29], v[138:139], v[28:29]
	v_accvgpr_read_b32 v130, a214
	v_accvgpr_read_b32 v131, a215
	v_fma_f64 v[54:55], v[144:145], v[52:53], -v[42:43]
	v_fma_f64 v[56:57], v[136:137], v[22:23], -v[20:21]
	v_mul_f64 v[52:53], v[134:135], v[60:61]
	v_mul_f64 v[20:21], v[134:135], v[58:59]
	v_fma_f64 v[28:29], v[136:137], v[30:31], -v[28:29]
	v_mul_f64 v[30:31], v[134:135], v[64:65]
	v_accvgpr_read_b32 v129, a213
	v_fmac_f64_e32 v[52:53], v[132:133], v[58:59]
	v_fma_f64 v[58:59], v[132:133], v[60:61], -v[20:21]
	v_mul_f64 v[20:21], v[130:131], v[24:25]
	v_fmac_f64_e32 v[30:31], v[132:133], v[62:63]
	v_fma_f64 v[62:63], v[128:129], v[26:27], -v[20:21]
	v_mul_f64 v[64:65], v[150:151], v[68:69]
	v_mul_f64 v[20:21], v[150:151], v[66:67]
	v_fmac_f64_e32 v[64:65], v[148:149], v[66:67]
	v_fma_f64 v[66:67], v[148:149], v[68:69], -v[20:21]
	v_mul_f64 v[20:21], v[142:143], v[32:33]
	v_mul_f64 v[158:159], v[130:131], v[38:39]
	v_fma_f64 v[220:221], v[140:141], v[34:35], -v[20:21]
	v_mul_f64 v[20:21], v[146:147], v[44:45]
	v_fmac_f64_e32 v[158:159], v[128:129], v[36:37]
	v_mul_f64 v[36:37], v[130:131], v[36:37]
	v_fma_f64 v[74:75], v[144:145], v[46:47], -v[20:21]
	v_mul_f64 v[20:21], v[138:139], v[82:83]
	v_fma_f64 v[36:37], v[128:129], v[38:39], -v[36:37]
	v_mul_f64 v[38:39], v[150:151], v[72:73]
	v_fma_f64 v[76:77], v[136:137], v[84:85], -v[20:21]
	v_mul_f64 v[72:73], v[134:135], v[80:81]
	v_mul_f64 v[20:21], v[134:135], v[78:79]
	v_fmac_f64_e32 v[38:39], v[148:149], v[70:71]
	v_mul_f64 v[70:71], v[138:139], v[84:85]
	v_fmac_f64_e32 v[72:73], v[132:133], v[78:79]
	v_fma_f64 v[78:79], v[132:133], v[80:81], -v[20:21]
	v_mul_f64 v[20:21], v[130:131], v[90:91]
	v_fmac_f64_e32 v[70:71], v[136:137], v[82:83]
	v_fma_f64 v[82:83], v[128:129], v[92:93], -v[20:21]
	v_mul_f64 v[84:85], v[150:151], v[88:89]
	v_mul_f64 v[20:21], v[150:151], v[86:87]
	;; [unrolled: 1-line block ×3, first 2 shown]
	v_fmac_f64_e32 v[84:85], v[148:149], v[86:87]
	v_fma_f64 v[86:87], v[148:149], v[88:89], -v[20:21]
	v_mul_f64 v[20:21], v[142:143], v[94:95]
	v_fmac_f64_e32 v[80:81], v[128:129], v[90:91]
	v_mul_f64 v[88:89], v[142:143], v[96:97]
	v_fma_f64 v[90:91], v[140:141], v[96:97], -v[20:21]
	v_mul_f64 v[20:21], v[146:147], v[114:115]
	v_fmac_f64_e32 v[88:89], v[140:141], v[94:95]
	v_fma_f64 v[98:99], v[144:145], v[116:117], -v[20:21]
	v_mul_f64 v[94:95], v[138:139], v[102:103]
	v_mul_f64 v[20:21], v[138:139], v[100:101]
	v_fmac_f64_e32 v[94:95], v[136:137], v[100:101]
	v_fma_f64 v[100:101], v[136:137], v[102:103], -v[20:21]
	v_mul_f64 v[20:21], v[134:135], v[204:205]
	v_fma_f64 v[102:103], v[132:133], v[206:207], -v[20:21]
	v_mul_f64 v[104:105], v[130:131], v[108:109]
	v_mul_f64 v[20:21], v[130:131], v[106:107]
	;; [unrolled: 1-line block ×3, first 2 shown]
	v_fmac_f64_e32 v[104:105], v[128:129], v[106:107]
	v_fma_f64 v[106:107], v[128:129], v[108:109], -v[20:21]
	s_waitcnt lgkmcnt(2)
	v_mul_f64 v[206:207], v[150:151], v[214:215]
	v_mul_f64 v[20:21], v[150:151], v[212:213]
	v_fmac_f64_e32 v[206:207], v[148:149], v[212:213]
	v_fma_f64 v[212:213], v[148:149], v[214:215], -v[20:21]
	v_mul_f64 v[20:21], v[142:143], v[110:111]
	v_mul_f64 v[68:69], v[146:147], v[46:47]
	;; [unrolled: 1-line block ×3, first 2 shown]
	v_fma_f64 v[216:217], v[140:141], v[112:113], -v[20:21]
	v_mul_f64 v[108:109], v[146:147], v[120:121]
	v_mul_f64 v[20:21], v[146:147], v[118:119]
	v_fmac_f64_e32 v[68:69], v[144:145], v[44:45]
	v_fmac_f64_e32 v[92:93], v[144:145], v[114:115]
	v_mul_f64 v[214:215], v[142:143], v[112:113]
	v_fmac_f64_e32 v[108:109], v[144:145], v[118:119]
	v_fma_f64 v[144:145], v[144:145], v[120:121], -v[20:21]
	v_mul_f64 v[20:21], v[138:139], v[200:201]
	v_fmac_f64_e32 v[214:215], v[140:141], v[110:111]
	v_mul_f64 v[110:111], v[138:139], v[202:203]
	v_fma_f64 v[138:139], v[136:137], v[202:203], -v[20:21]
	v_mul_f64 v[20:21], v[134:135], v[248:249]
	v_fma_f64 v[146:147], v[132:133], v[250:251], -v[20:21]
	v_mul_f64 v[20:21], v[130:131], v[252:253]
	v_fmac_f64_e32 v[96:97], v[132:133], v[204:205]
	v_fma_f64 v[202:203], v[128:129], v[254:255], -v[20:21]
	s_waitcnt lgkmcnt(1)
	v_mul_f64 v[204:205], v[150:151], v[124:125]
	v_mul_f64 v[20:21], v[150:151], v[122:123]
	;; [unrolled: 1-line block ×3, first 2 shown]
	v_fmac_f64_e32 v[204:205], v[148:149], v[122:123]
	v_fma_f64 v[148:149], v[148:149], v[124:125], -v[20:21]
	s_waitcnt lgkmcnt(0)
	v_mul_f64 v[150:151], v[142:143], v[154:155]
	v_mul_f64 v[20:21], v[142:143], v[152:153]
	v_fmac_f64_e32 v[218:219], v[140:141], v[32:33]
	v_fmac_f64_e32 v[150:151], v[140:141], v[152:153]
	v_fma_f64 v[140:141], v[140:141], v[154:155], -v[20:21]
	v_add_f64 v[20:21], v[126:127], v[162:163]
	v_add_f64 v[32:33], v[226:227], v[38:39]
	v_mul_f64 v[60:61], v[130:131], v[26:27]
	v_add_f64 v[22:23], v[222:223], v[40:41]
	v_add_f64 v[26:27], v[222:223], -v[40:41]
	v_add_f64 v[34:35], v[28:29], v[160:161]
	v_add_f64 v[40:41], v[30:31], v[158:159]
	;; [unrolled: 1-line block ×5, first 2 shown]
	v_add_f64 v[112:113], v[32:33], -v[20:21]
	v_add_f64 v[20:21], v[20:21], -v[40:41]
	;; [unrolled: 1-line block ×3, first 2 shown]
	v_add_f64 v[40:41], v[40:41], v[44:45]
	v_fmac_f64_e32 v[60:61], v[128:129], v[24:25]
	v_add_f64 v[24:25], v[126:127], -v[162:163]
	v_add_f64 v[38:39], v[226:227], -v[38:39]
	;; [unrolled: 1-line block ×8, first 2 shown]
	v_add_f64 v[42:43], v[42:43], v[46:47]
	v_add_f64 v[16:17], v[16:17], v[40:41]
	s_mov_b32 s4, 0x37e14327
	s_mov_b32 s2, 0x36b3c0b5
	;; [unrolled: 1-line block ×5, first 2 shown]
	v_add_f64 v[116:117], v[30:31], v[38:39]
	v_add_f64 v[118:119], v[36:37], v[28:29]
	v_add_f64 v[120:121], v[30:31], -v[38:39]
	v_add_f64 v[122:123], v[36:37], -v[28:29]
	;; [unrolled: 1-line block ×3, first 2 shown]
	v_add_f64 v[18:19], v[18:19], v[42:43]
	s_mov_b32 s5, 0x3fe948f6
	s_mov_b32 s3, 0x3fac98ee
	;; [unrolled: 1-line block ×5, first 2 shown]
	v_pk_mov_b32 v[124:125], v[16:17], v[16:17] op_sel:[0,1]
	s_mov_b32 s20, 0x5476071b
	s_mov_b32 s24, 0xb247c609
	v_add_f64 v[30:31], v[24:25], -v[30:31]
	v_add_f64 v[36:37], v[26:27], -v[36:37]
	;; [unrolled: 1-line block ×3, first 2 shown]
	v_add_f64 v[24:25], v[116:117], v[24:25]
	v_add_f64 v[26:27], v[118:119], v[26:27]
	v_mul_f64 v[20:21], v[20:21], s[4:5]
	v_mul_f64 v[22:23], v[22:23], s[4:5]
	;; [unrolled: 1-line block ×7, first 2 shown]
	v_fmac_f64_e32 v[124:125], s[18:19], v[40:41]
	v_pk_mov_b32 v[40:41], v[18:19], v[18:19] op_sel:[0,1]
	s_mov_b32 s21, 0x3fe77f67
	s_mov_b32 s23, 0xbfe77f67
	;; [unrolled: 1-line block ×7, first 2 shown]
	v_mul_f64 v[122:123], v[28:29], s[12:13]
	v_fmac_f64_e32 v[40:41], s[18:19], v[42:43]
	v_fma_f64 v[42:43], v[112:113], s[20:21], -v[44:45]
	v_fma_f64 v[44:45], v[114:115], s[20:21], -v[46:47]
	;; [unrolled: 1-line block ×3, first 2 shown]
	v_fmac_f64_e32 v[20:21], s[2:3], v[32:33]
	v_fma_f64 v[32:33], v[114:115], s[22:23], -v[22:23]
	v_fmac_f64_e32 v[22:23], s[2:3], v[34:35]
	v_fma_f64 v[34:35], v[38:39], s[12:13], -v[116:117]
	v_fma_f64 v[38:39], v[28:29], s[12:13], -v[118:119]
	;; [unrolled: 1-line block ×3, first 2 shown]
	s_mov_b32 s27, 0xbfdc38aa
	v_fmac_f64_e32 v[118:119], s[24:25], v[36:37]
	v_fma_f64 v[36:37], v[36:37], s[28:29], -v[122:123]
	v_add_f64 v[120:121], v[22:23], v[40:41]
	v_add_f64 v[42:43], v[42:43], v[124:125]
	;; [unrolled: 1-line block ×4, first 2 shown]
	v_fmac_f64_e32 v[34:35], s[26:27], v[24:25]
	v_fmac_f64_e32 v[38:39], s[26:27], v[26:27]
	;; [unrolled: 1-line block ×4, first 2 shown]
	v_add_f64 v[114:115], v[20:21], v[124:125]
	v_add_f64 v[46:47], v[46:47], v[124:125]
	v_fmac_f64_e32 v[118:119], s[26:27], v[26:27]
	v_fmac_f64_e32 v[36:37], s[26:27], v[26:27]
	v_add_f64 v[26:27], v[40:41], -v[112:113]
	v_add_f64 v[28:29], v[42:43], -v[38:39]
	v_add_f64 v[30:31], v[34:35], v[44:45]
	v_add_f64 v[32:33], v[38:39], v[42:43]
	v_add_f64 v[34:35], v[44:45], -v[34:35]
	v_add_f64 v[38:39], v[112:113], v[40:41]
	v_add_f64 v[44:45], v[48:49], v[218:219]
	v_add_f64 v[112:113], v[50:51], v[64:65]
	v_fmac_f64_e32 v[116:117], s[26:27], v[24:25]
	v_add_f64 v[20:21], v[118:119], v[114:115]
	v_add_f64 v[24:25], v[36:37], v[46:47]
	v_add_f64 v[36:37], v[46:47], -v[36:37]
	v_add_f64 v[40:41], v[114:115], -v[118:119]
	v_add_f64 v[46:47], v[54:55], v[220:221]
	v_add_f64 v[114:115], v[56:57], v[66:67]
	v_add_f64 v[50:51], v[50:51], -v[64:65]
	v_add_f64 v[64:65], v[52:53], v[60:61]
	v_add_f64 v[52:53], v[60:61], -v[52:53]
	;; [unrolled: 2-line block ×4, first 2 shown]
	v_add_f64 v[62:63], v[114:115], v[46:47]
	v_add_f64 v[60:61], v[64:65], v[60:61]
	v_fmac_f64_e32 v[110:111], v[136:137], v[200:201]
	v_mul_f64 v[200:201], v[130:131], v[254:255]
	v_add_f64 v[62:63], v[66:67], v[62:63]
	v_add_f64 v[12:13], v[12:13], v[60:61]
	v_fmac_f64_e32 v[200:201], v[128:129], v[252:253]
	v_add_f64 v[22:23], v[120:121], -v[116:117]
	v_add_f64 v[42:43], v[116:117], v[120:121]
	v_add_f64 v[48:49], v[48:49], -v[218:219]
	v_add_f64 v[54:55], v[54:55], -v[220:221]
	;; [unrolled: 1-line block ×8, first 2 shown]
	v_add_f64 v[120:121], v[52:53], v[50:51]
	v_add_f64 v[122:123], v[58:59], v[56:57]
	v_add_f64 v[124:125], v[52:53], -v[50:51]
	v_add_f64 v[126:127], v[58:59], -v[56:57]
	v_add_f64 v[14:15], v[14:15], v[62:63]
	v_pk_mov_b32 v[128:129], v[12:13], v[12:13] op_sel:[0,1]
	v_add_f64 v[52:53], v[48:49], -v[52:53]
	v_add_f64 v[58:59], v[54:55], -v[58:59]
	;; [unrolled: 1-line block ×4, first 2 shown]
	v_add_f64 v[48:49], v[120:121], v[48:49]
	v_add_f64 v[54:55], v[122:123], v[54:55]
	v_mul_f64 v[44:45], v[44:45], s[4:5]
	v_mul_f64 v[46:47], v[46:47], s[4:5]
	;; [unrolled: 1-line block ×6, first 2 shown]
	v_fmac_f64_e32 v[128:129], s[18:19], v[60:61]
	v_pk_mov_b32 v[60:61], v[14:15], v[14:15] op_sel:[0,1]
	v_mul_f64 v[126:127], v[56:57], s[12:13]
	v_fmac_f64_e32 v[60:61], s[18:19], v[62:63]
	v_fma_f64 v[62:63], v[116:117], s[20:21], -v[64:65]
	v_fma_f64 v[64:65], v[118:119], s[20:21], -v[66:67]
	;; [unrolled: 1-line block ×3, first 2 shown]
	v_fmac_f64_e32 v[44:45], s[2:3], v[112:113]
	v_fma_f64 v[112:113], v[118:119], s[22:23], -v[46:47]
	v_fmac_f64_e32 v[46:47], s[2:3], v[114:115]
	v_fma_f64 v[114:115], v[50:51], s[12:13], -v[120:121]
	v_fma_f64 v[56:57], v[56:57], s[12:13], -v[122:123]
	v_mul_f64 v[124:125], v[50:51], s[12:13]
	v_fmac_f64_e32 v[122:123], s[24:25], v[58:59]
	v_fma_f64 v[118:119], v[58:59], s[28:29], -v[126:127]
	v_add_f64 v[58:59], v[62:63], v[128:129]
	v_add_f64 v[62:63], v[64:65], v[60:61]
	v_add_f64 v[64:65], v[66:67], v[128:129]
	v_add_f64 v[66:67], v[112:113], v[60:61]
	v_fmac_f64_e32 v[114:115], s[26:27], v[48:49]
	v_fmac_f64_e32 v[56:57], s[26:27], v[54:55]
	v_add_f64 v[112:113], v[68:69], v[88:89]
	v_add_f64 v[68:69], v[68:69], -v[88:89]
	v_add_f64 v[88:89], v[70:71], v[84:85]
	v_fmac_f64_e32 v[120:121], s[24:25], v[52:53]
	v_fma_f64 v[116:117], v[52:53], s[28:29], -v[124:125]
	v_fmac_f64_e32 v[122:123], s[26:27], v[54:55]
	v_fmac_f64_e32 v[118:119], s[26:27], v[54:55]
	v_add_f64 v[52:53], v[58:59], -v[56:57]
	v_add_f64 v[54:55], v[114:115], v[62:63]
	v_add_f64 v[56:57], v[56:57], v[58:59]
	v_add_f64 v[58:59], v[62:63], -v[114:115]
	v_add_f64 v[114:115], v[74:75], v[90:91]
	v_add_f64 v[74:75], v[74:75], -v[90:91]
	;; [unrolled: 2-line block ×6, first 2 shown]
	v_add_f64 v[82:83], v[90:91], v[114:115]
	v_add_f64 v[80:81], v[84:85], v[80:81]
	;; [unrolled: 1-line block ×4, first 2 shown]
	v_fmac_f64_e32 v[120:121], s[26:27], v[48:49]
	v_fmac_f64_e32 v[116:117], s[26:27], v[48:49]
	v_add_f64 v[82:83], v[86:87], v[82:83]
	v_add_f64 v[8:9], v[8:9], v[80:81]
	;; [unrolled: 1-line block ×3, first 2 shown]
	v_add_f64 v[46:47], v[126:127], -v[120:121]
	v_add_f64 v[48:49], v[118:119], v[64:65]
	v_add_f64 v[50:51], v[66:67], -v[116:117]
	v_add_f64 v[60:61], v[64:65], -v[118:119]
	v_add_f64 v[62:63], v[116:117], v[66:67]
	v_add_f64 v[64:65], v[124:125], -v[122:123]
	v_add_f64 v[66:67], v[120:121], v[126:127]
	v_add_f64 v[116:117], v[88:89], -v[112:113]
	v_add_f64 v[118:119], v[90:91], -v[114:115]
	;; [unrolled: 1-line block ×6, first 2 shown]
	v_add_f64 v[122:123], v[78:79], v[76:77]
	v_add_f64 v[126:127], v[78:79], -v[76:77]
	v_add_f64 v[10:11], v[10:11], v[82:83]
	v_pk_mov_b32 v[128:129], v[8:9], v[8:9] op_sel:[0,1]
	v_add_f64 v[120:121], v[72:73], v[70:71]
	v_add_f64 v[124:125], v[72:73], -v[70:71]
	v_add_f64 v[78:79], v[74:75], -v[78:79]
	;; [unrolled: 1-line block ×4, first 2 shown]
	v_add_f64 v[74:75], v[122:123], v[74:75]
	v_mul_f64 v[84:85], v[112:113], s[4:5]
	v_mul_f64 v[86:87], v[114:115], s[4:5]
	;; [unrolled: 1-line block ×5, first 2 shown]
	v_fmac_f64_e32 v[128:129], s[18:19], v[80:81]
	v_pk_mov_b32 v[80:81], v[10:11], v[10:11] op_sel:[0,1]
	v_add_f64 v[72:73], v[68:69], -v[72:73]
	v_add_f64 v[68:69], v[120:121], v[68:69]
	v_mul_f64 v[120:121], v[124:125], s[14:15]
	v_mul_f64 v[124:125], v[70:71], s[12:13]
	v_mul_f64 v[126:127], v[76:77], s[12:13]
	v_fmac_f64_e32 v[80:81], s[18:19], v[82:83]
	v_fma_f64 v[82:83], v[116:117], s[20:21], -v[112:113]
	v_fma_f64 v[112:113], v[118:119], s[20:21], -v[114:115]
	;; [unrolled: 1-line block ×4, first 2 shown]
	v_fmac_f64_e32 v[84:85], s[2:3], v[88:89]
	v_fma_f64 v[88:89], v[118:119], s[22:23], -v[86:87]
	v_fmac_f64_e32 v[86:87], s[2:3], v[90:91]
	v_fma_f64 v[90:91], v[70:71], s[12:13], -v[120:121]
	;; [unrolled: 2-line block ×3, first 2 shown]
	v_fma_f64 v[124:125], v[78:79], s[28:29], -v[126:127]
	v_add_f64 v[82:83], v[82:83], v[128:129]
	v_fmac_f64_e32 v[116:117], s[26:27], v[74:75]
	v_fmac_f64_e32 v[122:123], s[24:25], v[78:79]
	v_add_f64 v[126:127], v[84:85], v[128:129]
	v_add_f64 v[130:131], v[86:87], v[80:81]
	;; [unrolled: 1-line block ×5, first 2 shown]
	v_fmac_f64_e32 v[120:121], s[26:27], v[68:69]
	v_fmac_f64_e32 v[90:91], s[26:27], v[68:69]
	v_fmac_f64_e32 v[118:119], s[26:27], v[68:69]
	v_fmac_f64_e32 v[124:125], s[26:27], v[74:75]
	v_add_f64 v[76:77], v[82:83], -v[116:117]
	v_add_f64 v[80:81], v[116:117], v[82:83]
	v_add_f64 v[112:113], v[92:93], v[214:215]
	;; [unrolled: 1-line block ×3, first 2 shown]
	v_fmac_f64_e32 v[122:123], s[26:27], v[74:75]
	v_add_f64 v[70:71], v[130:131], -v[120:121]
	v_add_f64 v[72:73], v[124:125], v[86:87]
	v_add_f64 v[74:75], v[88:89], -v[118:119]
	v_add_f64 v[78:79], v[90:91], v[84:85]
	v_add_f64 v[82:83], v[84:85], -v[90:91]
	v_add_f64 v[84:85], v[86:87], -v[124:125]
	v_add_f64 v[86:87], v[118:119], v[88:89]
	v_add_f64 v[90:91], v[120:121], v[130:131]
	;; [unrolled: 1-line block ×5, first 2 shown]
	v_add_f64 v[96:97], v[104:105], -v[96:97]
	v_add_f64 v[104:105], v[116:117], v[112:113]
	v_mul_f64 v[136:137], v[134:135], v[250:251]
	v_add_f64 v[68:69], v[122:123], v[126:127]
	v_add_f64 v[88:89], v[126:127], -v[122:123]
	v_add_f64 v[94:95], v[94:95], -v[206:207]
	v_add_f64 v[100:101], v[100:101], -v[212:213]
	v_add_f64 v[122:123], v[102:103], v[106:107]
	v_add_f64 v[102:103], v[106:107], -v[102:103]
	v_add_f64 v[106:107], v[118:119], v[114:115]
	v_add_f64 v[104:105], v[120:121], v[104:105]
	v_fmac_f64_e32 v[136:137], v[132:133], v[248:249]
	v_add_f64 v[132:133], v[96:97], -v[94:95]
	v_add_f64 v[134:135], v[102:103], -v[100:101]
	v_add_f64 v[106:107], v[122:123], v[106:107]
	v_add_f64 v[4:5], v[4:5], v[104:105]
	v_add_f64 v[92:93], v[92:93], -v[214:215]
	v_add_f64 v[98:99], v[98:99], -v[216:217]
	;; [unrolled: 1-line block ×8, first 2 shown]
	v_add_f64 v[6:7], v[6:7], v[106:107]
	v_mul_f64 v[142:143], v[132:133], s[14:15]
	v_mul_f64 v[132:133], v[134:135], s[14:15]
	v_pk_mov_b32 v[134:135], v[4:5], v[4:5] op_sel:[0,1]
	v_add_f64 v[128:129], v[96:97], v[94:95]
	v_add_f64 v[130:131], v[102:103], v[100:101]
	v_add_f64 v[102:103], v[98:99], -v[102:103]
	v_add_f64 v[94:95], v[94:95], -v[92:93]
	;; [unrolled: 1-line block ×3, first 2 shown]
	v_mul_f64 v[112:113], v[112:113], s[4:5]
	v_mul_f64 v[114:115], v[114:115], s[4:5]
	;; [unrolled: 1-line block ×4, first 2 shown]
	v_fmac_f64_e32 v[134:135], s[18:19], v[104:105]
	v_pk_mov_b32 v[104:105], v[6:7], v[6:7] op_sel:[0,1]
	v_add_f64 v[96:97], v[92:93], -v[96:97]
	v_add_f64 v[92:93], v[128:129], v[92:93]
	v_add_f64 v[98:99], v[130:131], v[98:99]
	v_mul_f64 v[128:129], v[94:95], s[12:13]
	v_mul_f64 v[130:131], v[100:101], s[12:13]
	v_fmac_f64_e32 v[104:105], s[18:19], v[106:107]
	v_fma_f64 v[106:107], v[124:125], s[20:21], -v[120:121]
	v_fma_f64 v[120:121], v[126:127], s[20:21], -v[122:123]
	;; [unrolled: 1-line block ×3, first 2 shown]
	v_fmac_f64_e32 v[112:113], s[2:3], v[116:117]
	v_fma_f64 v[116:117], v[126:127], s[22:23], -v[114:115]
	v_fmac_f64_e32 v[114:115], s[2:3], v[118:119]
	v_fma_f64 v[118:119], v[94:95], s[12:13], -v[142:143]
	v_fma_f64 v[124:125], v[100:101], s[12:13], -v[132:133]
	v_fmac_f64_e32 v[132:133], s[24:25], v[102:103]
	v_fmac_f64_e32 v[142:143], s[24:25], v[96:97]
	v_fma_f64 v[126:127], v[96:97], s[28:29], -v[128:129]
	v_fma_f64 v[128:129], v[102:103], s[28:29], -v[130:131]
	v_add_f64 v[112:113], v[112:113], v[134:135]
	v_add_f64 v[106:107], v[106:107], v[134:135]
	;; [unrolled: 1-line block ×3, first 2 shown]
	v_fmac_f64_e32 v[132:133], s[26:27], v[98:99]
	v_fmac_f64_e32 v[118:119], s[26:27], v[92:93]
	v_fmac_f64_e32 v[124:125], s[26:27], v[98:99]
	v_add_f64 v[114:115], v[114:115], v[104:105]
	v_add_f64 v[122:123], v[122:123], v[134:135]
	;; [unrolled: 1-line block ×3, first 2 shown]
	v_fmac_f64_e32 v[142:143], s[26:27], v[92:93]
	v_fmac_f64_e32 v[126:127], s[26:27], v[92:93]
	;; [unrolled: 1-line block ×3, first 2 shown]
	v_add_f64 v[92:93], v[132:133], v[112:113]
	v_add_f64 v[100:101], v[106:107], -v[124:125]
	v_add_f64 v[102:103], v[118:119], v[120:121]
	v_add_f64 v[104:105], v[124:125], v[106:107]
	v_add_f64 v[106:107], v[120:121], -v[118:119]
	v_add_f64 v[132:133], v[112:113], -v[132:133]
	v_add_f64 v[112:113], v[108:109], v[150:151]
	v_add_f64 v[118:119], v[110:111], v[204:205]
	v_add_f64 v[94:95], v[114:115], -v[142:143]
	v_add_f64 v[96:97], v[128:129], v[122:123]
	v_add_f64 v[98:99], v[116:117], -v[126:127]
	v_add_f64 v[128:129], v[122:123], -v[128:129]
	v_add_f64 v[130:131], v[126:127], v[116:117]
	v_add_f64 v[134:135], v[142:143], v[114:115]
	;; [unrolled: 1-line block ×3, first 2 shown]
	v_add_f64 v[108:109], v[108:109], -v[150:151]
	v_add_f64 v[116:117], v[144:145], -v[140:141]
	v_add_f64 v[120:121], v[138:139], v[148:149]
	v_add_f64 v[110:111], v[110:111], -v[204:205]
	v_add_f64 v[122:123], v[138:139], -v[148:149]
	v_add_f64 v[124:125], v[136:137], v[200:201]
	;; [unrolled: 3-line block ×3, first 2 shown]
	v_add_f64 v[126:127], v[146:147], v[202:203]
	v_add_f64 v[142:143], v[120:121], v[114:115]
	v_add_f64 v[144:145], v[118:119], -v[112:113]
	v_add_f64 v[112:113], v[112:113], -v[124:125]
	v_add_f64 v[118:119], v[124:125], -v[118:119]
	v_add_f64 v[148:149], v[136:137], v[110:111]
	v_add_f64 v[150:151], v[138:139], v[122:123]
	v_add_f64 v[152:153], v[136:137], -v[110:111]
	v_add_f64 v[156:157], v[110:111], -v[108:109]
	v_add_f64 v[124:125], v[124:125], v[140:141]
	v_add_f64 v[146:147], v[120:121], -v[114:115]
	v_add_f64 v[114:115], v[114:115], -v[126:127]
	;; [unrolled: 1-line block ×7, first 2 shown]
	v_add_f64 v[126:127], v[126:127], v[142:143]
	v_add_f64 v[140:141], v[148:149], v[108:109]
	;; [unrolled: 1-line block ×4, first 2 shown]
	v_mul_f64 v[0:1], v[112:113], s[4:5]
	v_mul_f64 v[112:113], v[118:119], s[2:3]
	;; [unrolled: 1-line block ×4, first 2 shown]
	v_fma_f64 v[118:119], s[2:3], v[118:119], v[0:1]
	v_fma_f64 v[112:113], v[144:145], s[20:21], -v[112:113]
	v_fma_f64 v[0:1], v[144:145], s[22:23], -v[0:1]
	v_fma_f64 v[144:145], s[24:25], v[136:137], v[142:143]
	v_fma_f64 v[142:143], v[156:157], s[12:13], -v[142:143]
	v_fma_f64 v[150:151], v[136:137], s[28:29], -v[150:151]
	v_fmac_f64_e32 v[144:145], s[26:27], v[140:141]
	v_fmac_f64_e32 v[142:143], s[26:27], v[140:141]
	v_fmac_f64_e32 v[150:151], s[26:27], v[140:141]
	s_waitcnt lgkmcnt(0)
	; wave barrier
	buffer_load_dword v140, off, s[36:39], 0 offset:32 ; 4-byte Folded Reload
	s_waitcnt vmcnt(0)
	ds_write_b128 v140, v[16:19]
	ds_write_b128 v140, v[20:23] offset:64
	ds_write_b128 v140, v[24:27] offset:128
	ds_write_b128 v140, v[28:31] offset:192
	ds_write_b128 v140, v[32:35] offset:256
	ds_write_b128 v140, v[36:39] offset:320
	ds_write_b128 v140, v[40:43] offset:384
	buffer_load_dword v16, off, s[36:39], 0 offset:36 ; 4-byte Folded Reload
	s_waitcnt vmcnt(0)
	ds_write_b128 v16, v[12:15]
	ds_write_b128 v16, v[44:47] offset:64
	ds_write_b128 v16, v[48:51] offset:128
	ds_write_b128 v16, v[52:55] offset:192
	ds_write_b128 v16, v[56:59] offset:256
	ds_write_b128 v16, v[60:63] offset:320
	ds_write_b128 v16, v[64:67] offset:384
	;; [unrolled: 9-line block ×4, first 2 shown]
	buffer_load_dword v4, off, s[36:39], 0 offset:52 ; 4-byte Folded Reload
	v_add_f64 v[110:111], v[2:3], v[126:127]
	v_mul_f64 v[148:149], v[154:155], s[14:15]
	v_pk_mov_b32 v[154:155], v[108:109], v[108:109] op_sel:[0,1]
	v_mul_f64 v[2:3], v[114:115], s[4:5]
	v_mul_f64 v[114:115], v[120:121], s[2:3]
	v_mul_f64 v[152:153], v[122:123], s[12:13]
	v_fmac_f64_e32 v[154:155], s[18:19], v[124:125]
	v_pk_mov_b32 v[124:125], v[110:111], v[110:111] op_sel:[0,1]
	v_fmac_f64_e32 v[124:125], s[18:19], v[126:127]
	v_fma_f64 v[114:115], v[146:147], s[20:21], -v[114:115]
	v_fma_f64 v[126:127], v[146:147], s[22:23], -v[2:3]
	;; [unrolled: 1-line block ×4, first 2 shown]
	v_fmac_f64_e32 v[2:3], s[2:3], v[120:121]
	v_fmac_f64_e32 v[148:149], s[24:25], v[138:139]
	v_add_f64 v[152:153], v[118:119], v[154:155]
	v_add_f64 v[138:139], v[112:113], v[154:155]
	;; [unrolled: 1-line block ×4, first 2 shown]
	v_fmac_f64_e32 v[146:147], s[26:27], v[116:117]
	v_fmac_f64_e32 v[136:137], s[26:27], v[116:117]
	v_add_f64 v[2:3], v[2:3], v[124:125]
	v_add_f64 v[156:157], v[114:115], v[124:125]
	v_fmac_f64_e32 v[148:149], s[26:27], v[116:117]
	v_add_f64 v[116:117], v[136:137], v[0:1]
	v_add_f64 v[120:121], v[138:139], -v[146:147]
	v_add_f64 v[124:125], v[146:147], v[138:139]
	v_add_f64 v[136:137], v[0:1], -v[136:137]
	v_add_f64 v[138:139], v[150:151], v[154:155]
	v_add_f64 v[112:113], v[148:149], v[152:153]
	v_add_f64 v[114:115], v[2:3], -v[144:145]
	v_add_f64 v[118:119], v[154:155], -v[150:151]
	v_add_f64 v[122:123], v[142:143], v[156:157]
	v_add_f64 v[126:127], v[156:157], -v[142:143]
	v_add_f64 v[0:1], v[152:153], -v[148:149]
	v_add_f64 v[2:3], v[144:145], v[2:3]
	s_waitcnt vmcnt(0)
	ds_write_b128 v4, v[108:111]
	ds_write_b128 v4, v[112:115] offset:64
	ds_write_b128 v4, v[116:119] offset:128
	;; [unrolled: 1-line block ×6, first 2 shown]
	s_waitcnt lgkmcnt(0)
	; wave barrier
	s_waitcnt lgkmcnt(0)
	ds_read_b128 v[68:71], v224
	ds_read_b128 v[64:67], v224 offset:896
	ds_read_b128 v[200:203], v224 offset:16576
	;; [unrolled: 1-line block ×33, first 2 shown]
	s_and_saveexec_b64 s[2:3], s[0:1]
	s_cbranch_execz .LBB0_19
; %bb.18:
	ds_read_b128 v[0:3], v224 offset:15232
	ds_read_b128 v[208:211], v224 offset:30912
.LBB0_19:
	s_or_b64 exec, exec, s[2:3]
	v_accvgpr_read_b32 v112, a156
	v_accvgpr_read_b32 v114, a158
	;; [unrolled: 1-line block ×5, first 2 shown]
	s_waitcnt lgkmcnt(3)
	v_mul_f64 v[108:109], v[114:115], v[206:207]
	v_mul_f64 v[110:111], v[114:115], v[204:205]
	v_accvgpr_read_b32 v118, a154
	v_accvgpr_read_b32 v119, a155
	;; [unrolled: 1-line block ×3, first 2 shown]
	v_fmac_f64_e32 v[108:109], v[112:113], v[204:205]
	v_fma_f64 v[110:111], v[112:113], v[206:207], -v[110:111]
	v_accvgpr_read_b32 v117, a153
	v_mul_f64 v[112:113], v[118:119], v[202:203]
	v_mul_f64 v[114:115], v[118:119], v[200:201]
	v_accvgpr_read_b32 v122, a166
	v_accvgpr_read_b32 v123, a167
	v_fmac_f64_e32 v[112:113], v[116:117], v[200:201]
	v_fma_f64 v[114:115], v[116:117], v[202:203], -v[114:115]
	v_mul_f64 v[116:117], v[122:123], v[150:151]
	v_mul_f64 v[118:119], v[122:123], v[148:149]
	v_accvgpr_read_b32 v122, a160
	v_accvgpr_read_b32 v121, a165
	;; [unrolled: 1-line block ×4, first 2 shown]
	v_fmac_f64_e32 v[116:117], v[120:121], v[148:149]
	v_fma_f64 v[118:119], v[120:121], v[150:151], -v[118:119]
	v_accvgpr_read_b32 v123, a161
	v_mul_f64 v[120:121], v[124:125], v[106:107]
	v_fmac_f64_e32 v[120:121], v[122:123], v[104:105]
	v_mul_f64 v[104:105], v[124:125], v[104:105]
	v_fma_f64 v[104:105], v[122:123], v[106:107], -v[104:105]
	v_accvgpr_read_b32 v122, a172
	v_accvgpr_read_b32 v124, a174
	;; [unrolled: 1-line block ×4, first 2 shown]
	v_mul_f64 v[106:107], v[124:125], v[102:103]
	v_fmac_f64_e32 v[106:107], v[122:123], v[100:101]
	v_mul_f64 v[100:101], v[124:125], v[100:101]
	v_accvgpr_read_b32 v124, a168
	v_accvgpr_read_b32 v126, a170
	;; [unrolled: 1-line block ×3, first 2 shown]
	v_fma_f64 v[100:101], v[122:123], v[102:103], -v[100:101]
	v_accvgpr_read_b32 v125, a169
	v_mul_f64 v[102:103], v[126:127], v[146:147]
	v_mul_f64 v[122:123], v[126:127], v[144:145]
	v_fmac_f64_e32 v[102:103], v[124:125], v[144:145]
	v_fma_f64 v[122:123], v[124:125], v[146:147], -v[122:123]
	v_accvgpr_read_b32 v144, a180
	v_accvgpr_read_b32 v146, a182
	;; [unrolled: 1-line block ×4, first 2 shown]
	v_mul_f64 v[124:125], v[146:147], v[142:143]
	v_mul_f64 v[126:127], v[146:147], v[140:141]
	v_fmac_f64_e32 v[124:125], v[144:145], v[140:141]
	v_fma_f64 v[126:127], v[144:145], v[142:143], -v[126:127]
	v_accvgpr_read_b32 v142, a176
	v_accvgpr_read_b32 v144, a178
	v_accvgpr_read_b32 v145, a179
	v_accvgpr_read_b32 v143, a177
	v_mul_f64 v[140:141], v[144:145], v[138:139]
	v_fmac_f64_e32 v[140:141], v[142:143], v[136:137]
	v_mul_f64 v[136:137], v[144:145], v[136:137]
	v_fma_f64 v[136:137], v[142:143], v[138:139], -v[136:137]
	v_accvgpr_read_b32 v142, a188
	v_accvgpr_read_b32 v144, a190
	v_accvgpr_read_b32 v145, a191
	v_accvgpr_read_b32 v143, a189
	v_mul_f64 v[138:139], v[144:145], v[134:135]
	v_fmac_f64_e32 v[138:139], v[142:143], v[132:133]
	v_mul_f64 v[132:133], v[144:145], v[132:133]
	;; [unrolled: 8-line block ×7, first 2 shown]
	v_add_f64 v[90:91], v[54:55], -v[100:101]
	v_add_f64 v[100:101], v[40:41], -v[140:141]
	s_waitcnt lgkmcnt(0)
	; wave barrier
	s_waitcnt lgkmcnt(0)
	buffer_load_dword v140, off, s[36:39], 0 offset:56 ; 4-byte Folded Reload
	v_fma_f64 v[154:155], v[88:89], v[86:87], -v[84:85]
	v_accvgpr_read_b32 v84, a216
	v_accvgpr_read_b32 v86, a218
	;; [unrolled: 1-line block ×4, first 2 shown]
	v_mul_f64 v[156:157], v[86:87], v[78:79]
	v_fmac_f64_e32 v[156:157], v[84:85], v[76:77]
	v_mul_f64 v[76:77], v[86:87], v[76:77]
	v_fma_f64 v[158:159], v[84:85], v[78:79], -v[76:77]
	v_accvgpr_read_b32 v84, a208
	v_accvgpr_read_b32 v86, a210
	;; [unrolled: 1-line block ×4, first 2 shown]
	v_mul_f64 v[76:77], v[86:87], v[80:81]
	v_fma_f64 v[162:163], v[84:85], v[82:83], -v[76:77]
	v_accvgpr_read_b32 v76, a224
	v_accvgpr_read_b32 v78, a226
	;; [unrolled: 1-line block ×4, first 2 shown]
	v_mul_f64 v[200:201], v[78:79], v[74:75]
	v_fmac_f64_e32 v[200:201], v[76:77], v[72:73]
	v_mul_f64 v[72:73], v[78:79], v[72:73]
	v_fma_f64 v[202:203], v[76:77], v[74:75], -v[72:73]
	v_add_f64 v[72:73], v[68:69], -v[108:109]
	v_add_f64 v[74:75], v[70:71], -v[110:111]
	v_fma_f64 v[68:69], v[68:69], 2.0, -v[72:73]
	v_fma_f64 v[70:71], v[70:71], 2.0, -v[74:75]
	s_waitcnt vmcnt(0)
	ds_write_b128 v140, v[68:71]
	ds_write_b128 v140, v[72:75] offset:448
	buffer_load_dword v68, off, s[36:39], 0 offset:60 ; 4-byte Folded Reload
	v_add_f64 v[76:77], v[64:65], -v[112:113]
	v_add_f64 v[78:79], v[66:67], -v[114:115]
	v_fma_f64 v[64:65], v[64:65], 2.0, -v[76:77]
	v_fma_f64 v[66:67], v[66:67], 2.0, -v[78:79]
	v_mul_f64 v[160:161], v[86:87], v[82:83]
	v_fmac_f64_e32 v[160:161], v[84:85], v[80:81]
	v_add_f64 v[80:81], v[60:61], -v[116:117]
	v_add_f64 v[82:83], v[62:63], -v[118:119]
	s_waitcnt vmcnt(0)
	ds_write_b128 v68, v[64:67]
	ds_write_b128 v68, v[76:79] offset:448
	buffer_load_dword v64, off, s[36:39], 0 offset:64 ; 4-byte Folded Reload
	v_fma_f64 v[60:61], v[60:61], 2.0, -v[80:81]
	v_fma_f64 v[62:63], v[62:63], 2.0, -v[82:83]
	v_add_f64 v[84:85], v[56:57], -v[120:121]
	v_add_f64 v[86:87], v[58:59], -v[104:105]
	v_fma_f64 v[56:57], v[56:57], 2.0, -v[84:85]
	v_fma_f64 v[58:59], v[58:59], 2.0, -v[86:87]
	v_add_f64 v[88:89], v[52:53], -v[106:107]
	v_fma_f64 v[52:53], v[52:53], 2.0, -v[88:89]
	s_waitcnt vmcnt(0)
	ds_write_b128 v64, v[60:63]
	ds_write_b128 v64, v[80:83] offset:448
	buffer_load_dword v60, off, s[36:39], 0 offset:68 ; 4-byte Folded Reload
	v_fma_f64 v[54:55], v[54:55], 2.0, -v[90:91]
	v_add_f64 v[92:93], v[48:49], -v[102:103]
	v_add_f64 v[94:95], v[50:51], -v[122:123]
	v_fma_f64 v[48:49], v[48:49], 2.0, -v[92:93]
	v_fma_f64 v[50:51], v[50:51], 2.0, -v[94:95]
	v_add_f64 v[96:97], v[44:45], -v[124:125]
	v_add_f64 v[98:99], v[46:47], -v[126:127]
	v_fma_f64 v[44:45], v[44:45], 2.0, -v[96:97]
	s_waitcnt vmcnt(0)
	ds_write_b128 v60, v[56:59]
	ds_write_b128 v60, v[84:87] offset:448
	buffer_load_dword v56, off, s[36:39], 0 offset:72 ; 4-byte Folded Reload
	v_fma_f64 v[46:47], v[46:47], 2.0, -v[98:99]
	v_add_f64 v[102:103], v[42:43], -v[136:137]
	v_add_f64 v[104:105], v[36:37], -v[138:139]
	v_fma_f64 v[40:41], v[40:41], 2.0, -v[100:101]
	v_fma_f64 v[42:43], v[42:43], 2.0, -v[102:103]
	v_add_f64 v[106:107], v[38:39], -v[132:133]
	v_fma_f64 v[36:37], v[36:37], 2.0, -v[104:105]
	v_add_f64 v[108:109], v[32:33], -v[134:135]
	s_waitcnt vmcnt(0)
	ds_write_b128 v56, v[52:55]
	ds_write_b128 v56, v[88:91] offset:448
	buffer_load_dword v52, off, s[36:39], 0 offset:76 ; 4-byte Folded Reload
	v_add_f64 v[110:111], v[34:35], -v[128:129]
	v_fma_f64 v[38:39], v[38:39], 2.0, -v[106:107]
	v_fma_f64 v[32:33], v[32:33], 2.0, -v[108:109]
	;; [unrolled: 1-line block ×3, first 2 shown]
	v_add_f64 v[112:113], v[28:29], -v[130:131]
	v_add_f64 v[114:115], v[30:31], -v[142:143]
	v_fma_f64 v[28:29], v[28:29], 2.0, -v[112:113]
	v_fma_f64 v[30:31], v[30:31], 2.0, -v[114:115]
	s_waitcnt vmcnt(0)
	ds_write_b128 v52, v[48:51]
	ds_write_b128 v52, v[92:95] offset:448
	buffer_load_dword v48, off, s[36:39], 0 offset:80 ; 4-byte Folded Reload
	v_add_f64 v[116:117], v[24:25], -v[144:145]
	v_add_f64 v[118:119], v[26:27], -v[146:147]
	v_fma_f64 v[24:25], v[24:25], 2.0, -v[116:117]
	v_fma_f64 v[26:27], v[26:27], 2.0, -v[118:119]
	v_add_f64 v[120:121], v[20:21], -v[148:149]
	v_add_f64 v[122:123], v[22:23], -v[150:151]
	v_fma_f64 v[20:21], v[20:21], 2.0, -v[120:121]
	v_fma_f64 v[22:23], v[22:23], 2.0, -v[122:123]
	s_waitcnt vmcnt(0)
	ds_write_b128 v48, v[44:47]
	ds_write_b128 v48, v[96:99] offset:448
	buffer_load_dword v44, off, s[36:39], 0 offset:84 ; 4-byte Folded Reload
	v_add_f64 v[124:125], v[16:17], -v[152:153]
	v_add_f64 v[126:127], v[18:19], -v[154:155]
	v_fma_f64 v[16:17], v[16:17], 2.0, -v[124:125]
	v_fma_f64 v[18:19], v[18:19], 2.0, -v[126:127]
	v_add_f64 v[128:129], v[12:13], -v[156:157]
	v_add_f64 v[130:131], v[14:15], -v[158:159]
	v_fma_f64 v[12:13], v[12:13], 2.0, -v[128:129]
	v_fma_f64 v[14:15], v[14:15], 2.0, -v[130:131]
	s_waitcnt vmcnt(0)
	ds_write_b128 v44, v[40:43]
	ds_write_b128 v44, v[100:103] offset:448
	ds_write_b128 v239, v[36:39]
	ds_write_b128 v239, v[104:107] offset:448
	v_accvgpr_read_b32 v36, a236
	ds_write_b128 v36, v[32:35]
	ds_write_b128 v36, v[108:111] offset:448
	v_accvgpr_read_b32 v32, a237
	;; [unrolled: 3-line block ×5, first 2 shown]
	v_add_f64 v[132:133], v[8:9], -v[160:161]
	v_add_f64 v[134:135], v[10:11], -v[162:163]
	ds_write_b128 v20, v[16:19]
	ds_write_b128 v20, v[124:127] offset:448
	v_accvgpr_read_b32 v16, a1
	v_fma_f64 v[8:9], v[8:9], 2.0, -v[132:133]
	v_fma_f64 v[10:11], v[10:11], 2.0, -v[134:135]
	v_add_f64 v[136:137], v[4:5], -v[200:201]
	v_add_f64 v[138:139], v[6:7], -v[202:203]
	ds_write_b128 v16, v[12:15]
	ds_write_b128 v16, v[128:131] offset:448
	v_accvgpr_read_b32 v12, a246
	v_fma_f64 v[4:5], v[4:5], 2.0, -v[136:137]
	v_fma_f64 v[6:7], v[6:7], 2.0, -v[138:139]
	ds_write_b128 v12, v[8:11]
	ds_write_b128 v12, v[132:135] offset:448
	v_accvgpr_read_b32 v8, a247
	ds_write_b128 v8, v[4:7]
	ds_write_b128 v8, v[136:139] offset:448
	s_and_saveexec_b64 s[2:3], s[0:1]
	s_cbranch_execz .LBB0_21
; %bb.20:
	v_accvgpr_read_b32 v10, a148
	v_accvgpr_read_b32 v12, a150
	;; [unrolled: 1-line block ×4, first 2 shown]
	v_mul_f64 v[4:5], v[12:13], v[208:209]
	v_fma_f64 v[4:5], v[10:11], v[210:211], -v[4:5]
	v_add_f64 v[4:5], v[2:3], -v[4:5]
	v_fma_f64 v[8:9], v[2:3], 2.0, -v[4:5]
	v_mul_f64 v[2:3], v[12:13], v[210:211]
	v_fmac_f64_e32 v[2:3], v[10:11], v[208:209]
	v_add_f64 v[2:3], v[0:1], -v[2:3]
	v_fma_f64 v[6:7], v[0:1], 2.0, -v[2:3]
	buffer_load_dword v0, off, s[36:39], 0 offset:40 ; 4-byte Folded Reload
	s_waitcnt vmcnt(0)
	ds_write_b128 v0, v[6:9] offset:30464
	ds_write_b128 v0, v[2:5] offset:30912
.LBB0_21:
	s_or_b64 exec, exec, s[2:3]
	s_waitcnt lgkmcnt(0)
	; wave barrier
	s_waitcnt lgkmcnt(0)
	ds_read_b128 v[0:3], v224 offset:4480
	v_accvgpr_read_b32 v8, a116
	v_accvgpr_read_b32 v10, a118
	v_accvgpr_read_b32 v11, a119
	v_accvgpr_read_b32 v9, a117
	s_waitcnt lgkmcnt(0)
	v_mul_f64 v[4:5], v[10:11], v[2:3]
	v_fmac_f64_e32 v[4:5], v[8:9], v[0:1]
	v_mul_f64 v[0:1], v[10:11], v[0:1]
	v_fma_f64 v[6:7], v[8:9], v[2:3], -v[0:1]
	ds_read_b128 v[0:3], v224 offset:5376
	v_accvgpr_read_b32 v12, a108
	v_accvgpr_read_b32 v14, a110
	v_accvgpr_read_b32 v15, a111
	v_accvgpr_read_b32 v13, a109
	s_waitcnt lgkmcnt(0)
	v_mul_f64 v[32:33], v[10:11], v[2:3]
	v_fmac_f64_e32 v[32:33], v[8:9], v[0:1]
	v_mul_f64 v[0:1], v[10:11], v[0:1]
	v_fma_f64 v[34:35], v[8:9], v[2:3], -v[0:1]
	ds_read_b128 v[0:3], v224 offset:8960
	v_accvgpr_read_b32 v19, a13
	v_accvgpr_read_b32 v18, a12
	v_accvgpr_read_b32 v17, a11
	v_accvgpr_read_b32 v16, a10
	s_waitcnt lgkmcnt(0)
	v_mul_f64 v[8:9], v[14:15], v[2:3]
	v_fmac_f64_e32 v[8:9], v[12:13], v[0:1]
	v_mul_f64 v[0:1], v[14:15], v[0:1]
	v_fma_f64 v[10:11], v[12:13], v[2:3], -v[0:1]
	ds_read_b128 v[0:3], v224 offset:9856
	v_accvgpr_read_b32 v20, a238
	v_accvgpr_read_b32 v22, a240
	v_accvgpr_read_b32 v23, a241
	v_accvgpr_read_b32 v21, a239
	s_waitcnt lgkmcnt(0)
	v_mul_f64 v[36:37], v[14:15], v[2:3]
	v_fmac_f64_e32 v[36:37], v[12:13], v[0:1]
	v_mul_f64 v[0:1], v[14:15], v[0:1]
	v_fma_f64 v[38:39], v[12:13], v[2:3], -v[0:1]
	ds_read_b128 v[0:3], v224 offset:13440
	v_accvgpr_read_b32 v28, a80
	v_accvgpr_read_b32 v30, a82
	v_accvgpr_read_b32 v31, a83
	v_accvgpr_read_b32 v29, a81
	s_waitcnt lgkmcnt(0)
	v_mul_f64 v[12:13], v[18:19], v[2:3]
	v_fmac_f64_e32 v[12:13], v[16:17], v[0:1]
	v_mul_f64 v[0:1], v[18:19], v[0:1]
	v_fma_f64 v[14:15], v[16:17], v[2:3], -v[0:1]
	ds_read_b128 v[0:3], v224 offset:14336
	s_mov_b32 s4, 0xaaaaaaaa
	s_mov_b32 s5, 0xbff2aaaa
	;; [unrolled: 1-line block ×4, first 2 shown]
	s_waitcnt lgkmcnt(0)
	v_mul_f64 v[40:41], v[18:19], v[2:3]
	v_fmac_f64_e32 v[40:41], v[16:17], v[0:1]
	v_mul_f64 v[0:1], v[18:19], v[0:1]
	v_fma_f64 v[42:43], v[16:17], v[2:3], -v[0:1]
	ds_read_b128 v[0:3], v224 offset:17920
	s_mov_b32 s2, 0x429ad128
	s_mov_b32 s22, 0x37e14327
	;; [unrolled: 1-line block ×4, first 2 shown]
	s_waitcnt lgkmcnt(0)
	v_mul_f64 v[16:17], v[22:23], v[2:3]
	v_fmac_f64_e32 v[16:17], v[20:21], v[0:1]
	v_mul_f64 v[0:1], v[22:23], v[0:1]
	v_fma_f64 v[18:19], v[20:21], v[2:3], -v[0:1]
	ds_read_b128 v[0:3], v224 offset:18816
	v_add_f64 v[60:61], v[12:13], v[16:17]
	v_add_f64 v[88:89], v[14:15], v[18:19]
	v_add_f64 v[12:13], v[16:17], -v[12:13]
	v_add_f64 v[14:15], v[18:19], -v[14:15]
	s_waitcnt lgkmcnt(0)
	v_mul_f64 v[44:45], v[22:23], v[2:3]
	v_fmac_f64_e32 v[44:45], v[20:21], v[0:1]
	v_mul_f64 v[0:1], v[22:23], v[0:1]
	v_fma_f64 v[46:47], v[20:21], v[2:3], -v[0:1]
	ds_read_b128 v[0:3], v224 offset:22400
	s_mov_b32 s3, 0xbfebfeb5
	s_mov_b32 s14, 0x5476071b
	;; [unrolled: 1-line block ×4, first 2 shown]
	s_waitcnt lgkmcnt(0)
	v_mul_f64 v[20:21], v[246:247], v[2:3]
	v_fmac_f64_e32 v[20:21], v[244:245], v[0:1]
	v_mul_f64 v[0:1], v[246:247], v[0:1]
	v_fma_f64 v[22:23], v[244:245], v[2:3], -v[0:1]
	ds_read_b128 v[0:3], v224 offset:23296
	v_add_f64 v[86:87], v[10:11], v[22:23]
	s_mov_b32 s15, 0x3fe77f67
	s_mov_b32 s18, 0x37c3f68c
	;; [unrolled: 1-line block ×3, first 2 shown]
	s_waitcnt lgkmcnt(0)
	v_mul_f64 v[48:49], v[246:247], v[2:3]
	v_fmac_f64_e32 v[48:49], v[244:245], v[0:1]
	v_mul_f64 v[0:1], v[246:247], v[0:1]
	v_fma_f64 v[50:51], v[244:245], v[2:3], -v[0:1]
	ds_read_b128 v[0:3], v224 offset:26880
	s_mov_b32 s24, s14
	s_mov_b32 s21, 0xbfd5d0dc
	;; [unrolled: 1-line block ×4, first 2 shown]
	s_waitcnt lgkmcnt(0)
	v_mul_f64 v[24:25], v[242:243], v[2:3]
	v_fmac_f64_e32 v[24:25], v[240:241], v[0:1]
	v_mul_f64 v[0:1], v[242:243], v[0:1]
	v_fma_f64 v[26:27], v[240:241], v[2:3], -v[0:1]
	ds_read_b128 v[0:3], v224 offset:27776
	v_add_f64 v[84:85], v[6:7], v[26:27]
	v_add_f64 v[26:27], v[6:7], -v[26:27]
	v_add_f64 v[6:7], v[10:11], -v[22:23]
	;; [unrolled: 1-line block ×3, first 2 shown]
	s_waitcnt lgkmcnt(0)
	v_mul_f64 v[56:57], v[242:243], v[2:3]
	v_fmac_f64_e32 v[56:57], v[240:241], v[0:1]
	v_mul_f64 v[0:1], v[242:243], v[0:1]
	v_fma_f64 v[58:59], v[240:241], v[2:3], -v[0:1]
	ds_read_b128 v[0:3], v224 offset:6272
	v_add_f64 v[108:109], v[6:7], -v[26:27]
	s_mov_b32 s19, 0xbfdc38aa
	s_waitcnt lgkmcnt(0)
	v_mul_f64 v[52:53], v[30:31], v[2:3]
	v_fmac_f64_e32 v[52:53], v[28:29], v[0:1]
	v_mul_f64 v[0:1], v[30:31], v[0:1]
	v_fma_f64 v[54:55], v[28:29], v[2:3], -v[0:1]
	ds_read_b128 v[0:3], v224 offset:10752
	v_accvgpr_read_b32 v28, a242
	v_accvgpr_read_b32 v30, a244
	v_accvgpr_read_b32 v31, a245
	v_accvgpr_read_b32 v29, a243
	s_waitcnt lgkmcnt(0)
	v_mul_f64 v[64:65], v[30:31], v[2:3]
	v_fmac_f64_e32 v[64:65], v[28:29], v[0:1]
	v_mul_f64 v[0:1], v[30:31], v[0:1]
	v_fma_f64 v[66:67], v[28:29], v[2:3], -v[0:1]
	ds_read_b128 v[0:3], v224 offset:15232
	v_accvgpr_read_b32 v28, a228
	v_accvgpr_read_b32 v30, a230
	v_accvgpr_read_b32 v31, a231
	v_accvgpr_read_b32 v29, a229
	;; [unrolled: 10-line block ×16, first 2 shown]
	s_waitcnt lgkmcnt(0)
	v_mul_f64 v[128:129], v[30:31], v[2:3]
	v_fmac_f64_e32 v[128:129], v[28:29], v[0:1]
	v_mul_f64 v[0:1], v[30:31], v[0:1]
	v_fma_f64 v[130:131], v[28:29], v[2:3], -v[0:1]
	ds_read_b128 v[0:3], v224 offset:30464
	v_add_f64 v[28:29], v[4:5], v[24:25]
	v_add_f64 v[30:31], v[8:9], v[20:21]
	v_add_f64 v[24:25], v[4:5], -v[24:25]
	v_add_f64 v[4:5], v[8:9], -v[20:21]
	s_waitcnt lgkmcnt(0)
	v_mul_f64 v[132:133], v[230:231], v[2:3]
	v_fmac_f64_e32 v[132:133], v[228:229], v[0:1]
	v_mul_f64 v[0:1], v[230:231], v[0:1]
	v_fma_f64 v[134:135], v[228:229], v[2:3], -v[0:1]
	v_add_f64 v[0:1], v[30:31], v[28:29]
	v_add_f64 v[62:63], v[60:61], v[0:1]
	;; [unrolled: 1-line block ×4, first 2 shown]
	ds_read_b128 v[0:3], v224
	v_add_f64 v[20:21], v[30:31], -v[28:29]
	v_add_f64 v[30:31], v[60:61], -v[30:31]
	v_add_f64 v[8:9], v[12:13], v[4:5]
	v_add_f64 v[10:11], v[12:13], -v[4:5]
	s_waitcnt lgkmcnt(0)
	v_add_f64 v[0:1], v[0:1], v[62:63]
	v_add_f64 v[2:3], v[2:3], v[90:91]
	v_pk_mov_b32 v[16:17], v[0:1], v[0:1] op_sel:[0,1]
	v_pk_mov_b32 v[18:19], v[2:3], v[2:3] op_sel:[0,1]
	v_fmac_f64_e32 v[16:17], s[4:5], v[62:63]
	v_fmac_f64_e32 v[18:19], s[4:5], v[90:91]
	v_add_f64 v[62:63], v[88:89], -v[86:87]
	v_add_f64 v[86:87], v[4:5], -v[24:25]
	v_add_f64 v[4:5], v[14:15], v[6:7]
	v_add_f64 v[90:91], v[14:15], -v[6:7]
	v_add_f64 v[28:29], v[28:29], -v[60:61]
	;; [unrolled: 1-line block ×3, first 2 shown]
	v_add_f64 v[110:111], v[8:9], v[24:25]
	v_add_f64 v[112:113], v[4:5], v[26:27]
	v_mul_f64 v[90:91], v[90:91], s[12:13]
	v_mul_f64 v[4:5], v[30:31], s[0:1]
	;; [unrolled: 1-line block ×3, first 2 shown]
	v_add_f64 v[24:25], v[24:25], -v[12:13]
	v_add_f64 v[26:27], v[26:27], -v[14:15]
	v_mul_f64 v[28:29], v[28:29], s[22:23]
	v_mul_f64 v[60:61], v[60:61], s[22:23]
	;; [unrolled: 1-line block ×5, first 2 shown]
	v_fma_f64 v[4:5], v[20:21], s[14:15], -v[4:5]
	v_fma_f64 v[6:7], v[22:23], s[14:15], -v[6:7]
	;; [unrolled: 1-line block ×7, first 2 shown]
	v_fmac_f64_e32 v[28:29], s[0:1], v[30:31]
	v_fmac_f64_e32 v[60:61], s[0:1], v[62:63]
	;; [unrolled: 1-line block ×3, first 2 shown]
	v_add_f64 v[8:9], v[4:5], v[16:17]
	v_add_f64 v[10:11], v[6:7], v[18:19]
	v_fma_f64 v[116:117], v[86:87], s[2:3], -v[114:115]
	v_add_f64 v[14:15], v[20:21], v[16:17]
	v_add_f64 v[86:87], v[22:23], v[18:19]
	v_fmac_f64_e32 v[84:85], s[18:19], v[110:111]
	v_fmac_f64_e32 v[12:13], s[18:19], v[112:113]
	v_add_f64 v[16:17], v[28:29], v[16:17]
	v_add_f64 v[18:19], v[60:61], v[18:19]
	v_fmac_f64_e32 v[90:91], s[18:19], v[112:113]
	v_add_f64 v[60:61], v[32:33], v[56:57]
	v_add_f64 v[62:63], v[36:37], v[48:49]
	;; [unrolled: 1-line block ×3, first 2 shown]
	v_add_f64 v[22:23], v[86:87], -v[84:85]
	v_add_f64 v[12:13], v[14:15], -v[12:13]
	v_add_f64 v[14:15], v[84:85], v[86:87]
	v_fmac_f64_e32 v[114:115], s[20:21], v[24:25]
	v_add_f64 v[24:25], v[90:91], v[16:17]
	v_add_f64 v[16:17], v[16:17], -v[90:91]
	v_add_f64 v[84:85], v[40:41], v[44:45]
	v_add_f64 v[28:29], v[62:63], v[60:61]
	;; [unrolled: 1-line block ×7, first 2 shown]
	v_fmac_f64_e32 v[116:117], s[18:19], v[110:111]
	v_fmac_f64_e32 v[114:115], s[18:19], v[110:111]
	v_add_f64 v[110:111], v[108:109], v[28:29]
	ds_read_b128 v[28:31], v224 offset:896
	v_add_f64 v[56:57], v[32:33], -v[56:57]
	v_add_f64 v[58:59], v[34:35], -v[58:59]
	;; [unrolled: 1-line block ×4, first 2 shown]
	s_waitcnt lgkmcnt(0)
	v_add_f64 v[28:29], v[28:29], v[86:87]
	v_add_f64 v[30:31], v[30:31], v[110:111]
	v_add_f64 v[40:41], v[44:45], -v[40:41]
	v_add_f64 v[42:43], v[46:47], -v[42:43]
	v_pk_mov_b32 v[44:45], v[28:29], v[28:29] op_sel:[0,1]
	v_pk_mov_b32 v[46:47], v[30:31], v[30:31] op_sel:[0,1]
	v_fmac_f64_e32 v[118:119], s[18:19], v[112:113]
	v_fmac_f64_e32 v[44:45], s[4:5], v[86:87]
	;; [unrolled: 1-line block ×3, first 2 shown]
	v_add_f64 v[48:49], v[62:63], -v[60:61]
	v_add_f64 v[62:63], v[84:85], -v[62:63]
	;; [unrolled: 1-line block ×4, first 2 shown]
	v_add_f64 v[36:37], v[40:41], v[32:33]
	v_add_f64 v[38:39], v[40:41], -v[32:33]
	v_add_f64 v[90:91], v[32:33], -v[56:57]
	v_add_f64 v[32:33], v[42:43], v[34:35]
	v_add_f64 v[110:111], v[42:43], -v[34:35]
	v_add_f64 v[112:113], v[34:35], -v[58:59]
	;; [unrolled: 1-line block ×4, first 2 shown]
	v_add_f64 v[6:7], v[116:117], v[10:11]
	v_add_f64 v[10:11], v[10:11], -v[116:117]
	v_add_f64 v[26:27], v[18:19], -v[114:115]
	v_add_f64 v[18:19], v[114:115], v[18:19]
	v_add_f64 v[114:115], v[36:37], v[56:57]
	;; [unrolled: 1-line block ×3, first 2 shown]
	v_mul_f64 v[110:111], v[110:111], s[12:13]
	v_mul_f64 v[32:33], v[62:63], s[0:1]
	;; [unrolled: 1-line block ×3, first 2 shown]
	v_add_f64 v[56:57], v[56:57], -v[40:41]
	v_add_f64 v[58:59], v[58:59], -v[42:43]
	v_mul_f64 v[60:61], v[60:61], s[22:23]
	v_mul_f64 v[84:85], v[84:85], s[22:23]
	;; [unrolled: 1-line block ×4, first 2 shown]
	v_add_f64 v[4:5], v[8:9], -v[118:119]
	v_add_f64 v[8:9], v[118:119], v[8:9]
	v_mul_f64 v[118:119], v[38:39], s[12:13]
	v_fma_f64 v[32:33], v[48:49], s[14:15], -v[32:33]
	v_fma_f64 v[34:35], v[50:51], s[14:15], -v[34:35]
	;; [unrolled: 1-line block ×7, first 2 shown]
	v_fmac_f64_e32 v[60:61], s[0:1], v[62:63]
	v_fmac_f64_e32 v[84:85], s[0:1], v[86:87]
	;; [unrolled: 1-line block ×3, first 2 shown]
	v_add_f64 v[36:37], v[32:33], v[44:45]
	v_add_f64 v[38:39], v[34:35], v[46:47]
	v_fma_f64 v[120:121], v[90:91], s[2:3], -v[118:119]
	v_add_f64 v[42:43], v[48:49], v[44:45]
	v_add_f64 v[90:91], v[50:51], v[46:47]
	v_fmac_f64_e32 v[88:89], s[18:19], v[114:115]
	v_fmac_f64_e32 v[40:41], s[18:19], v[116:117]
	v_add_f64 v[44:45], v[60:61], v[44:45]
	v_add_f64 v[46:47], v[84:85], v[46:47]
	v_fmac_f64_e32 v[110:111], s[18:19], v[116:117]
	v_add_f64 v[84:85], v[52:53], v[80:81]
	v_add_f64 v[86:87], v[64:65], v[76:77]
	;; [unrolled: 1-line block ×3, first 2 shown]
	v_add_f64 v[50:51], v[90:91], -v[88:89]
	v_add_f64 v[40:41], v[42:43], -v[40:41]
	v_add_f64 v[42:43], v[88:89], v[90:91]
	v_fmac_f64_e32 v[118:119], s[20:21], v[56:57]
	v_add_f64 v[56:57], v[110:111], v[44:45]
	v_add_f64 v[44:45], v[44:45], -v[110:111]
	v_add_f64 v[88:89], v[68:69], v[72:73]
	v_add_f64 v[60:61], v[86:87], v[84:85]
	;; [unrolled: 1-line block ×7, first 2 shown]
	v_fmac_f64_e32 v[120:121], s[18:19], v[114:115]
	v_fmac_f64_e32 v[118:119], s[18:19], v[114:115]
	v_add_f64 v[114:115], v[112:113], v[60:61]
	ds_read_b128 v[60:63], v224 offset:1792
	v_add_f64 v[52:53], v[52:53], -v[80:81]
	v_add_f64 v[54:55], v[54:55], -v[82:83]
	;; [unrolled: 1-line block ×4, first 2 shown]
	s_waitcnt lgkmcnt(0)
	v_add_f64 v[60:61], v[60:61], v[90:91]
	v_add_f64 v[62:63], v[62:63], v[114:115]
	v_add_f64 v[72:73], v[72:73], -v[68:69]
	v_add_f64 v[74:75], v[74:75], -v[70:71]
	v_pk_mov_b32 v[76:77], v[60:61], v[60:61] op_sel:[0,1]
	v_pk_mov_b32 v[78:79], v[62:63], v[62:63] op_sel:[0,1]
	v_fmac_f64_e32 v[122:123], s[18:19], v[116:117]
	v_fmac_f64_e32 v[76:77], s[4:5], v[90:91]
	;; [unrolled: 1-line block ×3, first 2 shown]
	v_add_f64 v[80:81], v[86:87], -v[84:85]
	v_add_f64 v[82:83], v[88:89], -v[86:87]
	v_add_f64 v[86:87], v[110:111], -v[108:109]
	v_add_f64 v[90:91], v[112:113], -v[110:111]
	v_add_f64 v[68:69], v[72:73], v[64:65]
	v_add_f64 v[70:71], v[72:73], -v[64:65]
	v_add_f64 v[110:111], v[64:65], -v[52:53]
	v_add_f64 v[64:65], v[74:75], v[66:67]
	v_add_f64 v[114:115], v[74:75], -v[66:67]
	v_add_f64 v[116:117], v[66:67], -v[54:55]
	;; [unrolled: 1-line block ×5, first 2 shown]
	v_add_f64 v[34:35], v[120:121], v[38:39]
	v_add_f64 v[36:37], v[122:123], v[36:37]
	v_add_f64 v[38:39], v[38:39], -v[120:121]
	v_add_f64 v[58:59], v[46:47], -v[118:119]
	v_add_f64 v[46:47], v[118:119], v[46:47]
	v_add_f64 v[118:119], v[68:69], v[52:53]
	;; [unrolled: 1-line block ×3, first 2 shown]
	v_mul_f64 v[122:123], v[70:71], s[12:13]
	v_mul_f64 v[114:115], v[114:115], s[12:13]
	;; [unrolled: 1-line block ×3, first 2 shown]
	v_add_f64 v[52:53], v[52:53], -v[72:73]
	v_add_f64 v[54:55], v[54:55], -v[74:75]
	v_mul_f64 v[108:109], v[84:85], s[22:23]
	v_mul_f64 v[88:89], v[88:89], s[22:23]
	v_mul_f64 v[72:73], v[110:111], s[2:3]
	v_mul_f64 v[74:75], v[116:117], s[2:3]
	v_fma_f64 v[64:65], v[80:81], s[14:15], -v[64:65]
	v_mul_f64 v[66:67], v[90:91], s[0:1]
	v_fma_f64 v[124:125], v[110:111], s[2:3], -v[122:123]
	v_fma_f64 v[126:127], v[116:117], s[2:3], -v[114:115]
	;; [unrolled: 1-line block ×6, first 2 shown]
	v_fmac_f64_e32 v[108:109], s[0:1], v[82:83]
	v_fmac_f64_e32 v[88:89], s[0:1], v[90:91]
	;; [unrolled: 1-line block ×4, first 2 shown]
	v_fma_f64 v[66:67], v[86:87], s[14:15], -v[66:67]
	v_add_f64 v[74:75], v[80:81], v[76:77]
	v_add_f64 v[80:81], v[84:85], v[78:79]
	v_fmac_f64_e32 v[110:111], s[18:19], v[118:119]
	v_fmac_f64_e32 v[72:73], s[18:19], v[120:121]
	v_add_f64 v[52:53], v[108:109], v[76:77]
	v_add_f64 v[54:55], v[88:89], v[78:79]
	v_fmac_f64_e32 v[122:123], s[18:19], v[118:119]
	v_fmac_f64_e32 v[114:115], s[18:19], v[120:121]
	v_add_f64 v[68:69], v[64:65], v[76:77]
	v_add_f64 v[70:71], v[66:67], v[78:79]
	v_fmac_f64_e32 v[124:125], s[18:19], v[118:119]
	v_fmac_f64_e32 v[126:127], s[18:19], v[120:121]
	v_add_f64 v[84:85], v[72:73], v[74:75]
	v_add_f64 v[86:87], v[80:81], -v[110:111]
	v_add_f64 v[72:73], v[74:75], -v[72:73]
	v_add_f64 v[74:75], v[110:111], v[80:81]
	v_add_f64 v[88:89], v[114:115], v[52:53]
	v_add_f64 v[90:91], v[54:55], -v[122:123]
	v_add_f64 v[80:81], v[52:53], -v[114:115]
	v_add_f64 v[82:83], v[122:123], v[54:55]
	ds_read_b128 v[52:55], v224 offset:3584
	ds_read_b128 v[76:79], v224 offset:2688
	v_add_f64 v[64:65], v[68:69], -v[126:127]
	v_add_f64 v[66:67], v[124:125], v[70:71]
	v_add_f64 v[68:69], v[126:127], v[68:69]
	v_add_f64 v[70:71], v[70:71], -v[124:125]
	s_waitcnt lgkmcnt(0)
	; wave barrier
	s_waitcnt lgkmcnt(0)
	ds_write_b128 v224, v[0:3]
	ds_write_b128 v224, v[24:27] offset:896
	ds_write_b128 v224, v[20:23] offset:1792
	;; [unrolled: 1-line block ×20, first 2 shown]
	v_add_f64 v[12:13], v[136:137], v[204:205]
	v_add_f64 v[4:5], v[140:141], v[200:201]
	;; [unrolled: 1-line block ×12, first 2 shown]
	v_add_f64 v[20:21], v[136:137], -v[204:205]
	v_add_f64 v[22:23], v[138:139], -v[206:207]
	v_add_f64 v[24:25], v[140:141], -v[200:201]
	v_add_f64 v[26:27], v[142:143], -v[202:203]
	v_add_f64 v[28:29], v[148:149], -v[144:145]
	v_add_f64 v[30:31], v[150:151], -v[146:147]
	v_pk_mov_b32 v[32:33], v[0:1], v[0:1] op_sel:[0,1]
	v_pk_mov_b32 v[34:35], v[2:3], v[2:3] op_sel:[0,1]
	v_fmac_f64_e32 v[32:33], s[4:5], v[6:7]
	v_fmac_f64_e32 v[34:35], s[4:5], v[10:11]
	v_add_f64 v[36:37], v[4:5], -v[12:13]
	v_add_f64 v[38:39], v[14:15], -v[4:5]
	;; [unrolled: 1-line block ×4, first 2 shown]
	v_add_f64 v[4:5], v[28:29], v[24:25]
	v_add_f64 v[6:7], v[28:29], -v[24:25]
	v_add_f64 v[24:25], v[24:25], -v[20:21]
	v_add_f64 v[8:9], v[30:31], v[26:27]
	v_add_f64 v[10:11], v[30:31], -v[26:27]
	v_add_f64 v[26:27], v[26:27], -v[22:23]
	;; [unrolled: 1-line block ×4, first 2 shown]
	v_add_f64 v[44:45], v[4:5], v[20:21]
	v_add_f64 v[46:47], v[8:9], v[22:23]
	v_mul_f64 v[48:49], v[6:7], s[12:13]
	v_mul_f64 v[50:51], v[10:11], s[12:13]
	;; [unrolled: 1-line block ×3, first 2 shown]
	v_add_f64 v[20:21], v[20:21], -v[28:29]
	v_add_f64 v[22:23], v[22:23], -v[30:31]
	v_mul_f64 v[28:29], v[12:13], s[22:23]
	v_mul_f64 v[30:31], v[14:15], s[22:23]
	;; [unrolled: 1-line block ×4, first 2 shown]
	v_fma_f64 v[4:5], v[36:37], s[14:15], -v[4:5]
	v_mul_f64 v[6:7], v[42:43], s[0:1]
	v_fma_f64 v[56:57], v[24:25], s[2:3], -v[48:49]
	v_fma_f64 v[58:59], v[26:27], s[2:3], -v[50:51]
	;; [unrolled: 1-line block ×7, first 2 shown]
	v_add_f64 v[8:9], v[4:5], v[32:33]
	v_fmac_f64_e32 v[58:59], s[18:19], v[46:47]
	v_add_f64 v[16:17], v[16:17], v[32:33]
	v_add_f64 v[18:19], v[18:19], v[34:35]
	v_fmac_f64_e32 v[24:25], s[18:19], v[44:45]
	v_fmac_f64_e32 v[26:27], s[18:19], v[46:47]
	;; [unrolled: 1-line block ×6, first 2 shown]
	v_add_f64 v[10:11], v[6:7], v[34:35]
	v_fmac_f64_e32 v[56:57], s[18:19], v[44:45]
	v_add_f64 v[4:5], v[8:9], -v[58:59]
	v_add_f64 v[12:13], v[26:27], v[16:17]
	v_add_f64 v[14:15], v[18:19], -v[24:25]
	v_add_f64 v[16:17], v[16:17], -v[26:27]
	v_add_f64 v[18:19], v[24:25], v[18:19]
	v_add_f64 v[24:25], v[28:29], v[32:33]
	;; [unrolled: 1-line block ×3, first 2 shown]
	v_fmac_f64_e32 v[48:49], s[18:19], v[44:45]
	v_fmac_f64_e32 v[50:51], s[18:19], v[46:47]
	v_add_f64 v[6:7], v[56:57], v[10:11]
	v_add_f64 v[8:9], v[58:59], v[8:9]
	v_add_f64 v[10:11], v[10:11], -v[56:57]
	v_add_f64 v[20:21], v[50:51], v[24:25]
	v_add_f64 v[22:23], v[26:27], -v[48:49]
	v_add_f64 v[24:25], v[24:25], -v[50:51]
	v_add_f64 v[26:27], v[48:49], v[26:27]
	ds_write_b128 v233, v[0:3] offset:18816
	ds_write_b128 v233, v[20:23] offset:19712
	;; [unrolled: 1-line block ×7, first 2 shown]
	v_add_f64 v[12:13], v[92:93], v[132:133]
	v_add_f64 v[4:5], v[96:97], v[128:129]
	;; [unrolled: 1-line block ×12, first 2 shown]
	v_add_f64 v[20:21], v[92:93], -v[132:133]
	v_add_f64 v[22:23], v[94:95], -v[134:135]
	;; [unrolled: 1-line block ×6, first 2 shown]
	v_pk_mov_b32 v[32:33], v[0:1], v[0:1] op_sel:[0,1]
	v_pk_mov_b32 v[34:35], v[2:3], v[2:3] op_sel:[0,1]
	v_fmac_f64_e32 v[32:33], s[4:5], v[6:7]
	v_fmac_f64_e32 v[34:35], s[4:5], v[10:11]
	v_add_f64 v[36:37], v[4:5], -v[12:13]
	v_add_f64 v[38:39], v[14:15], -v[4:5]
	;; [unrolled: 1-line block ×4, first 2 shown]
	v_add_f64 v[4:5], v[28:29], v[24:25]
	v_add_f64 v[6:7], v[28:29], -v[24:25]
	v_add_f64 v[24:25], v[24:25], -v[20:21]
	v_add_f64 v[8:9], v[30:31], v[26:27]
	v_add_f64 v[10:11], v[30:31], -v[26:27]
	v_add_f64 v[26:27], v[26:27], -v[22:23]
	;; [unrolled: 1-line block ×4, first 2 shown]
	v_add_f64 v[44:45], v[4:5], v[20:21]
	v_add_f64 v[46:47], v[8:9], v[22:23]
	v_mul_f64 v[48:49], v[6:7], s[12:13]
	v_mul_f64 v[50:51], v[10:11], s[12:13]
	v_add_f64 v[20:21], v[20:21], -v[28:29]
	v_add_f64 v[22:23], v[22:23], -v[30:31]
	v_mul_f64 v[28:29], v[12:13], s[22:23]
	v_mul_f64 v[30:31], v[14:15], s[22:23]
	v_mul_f64 v[12:13], v[24:25], s[2:3]
	v_mul_f64 v[14:15], v[26:27], s[2:3]
	v_fma_f64 v[52:53], v[24:25], s[2:3], -v[48:49]
	v_fma_f64 v[54:55], v[26:27], s[2:3], -v[50:51]
	;; [unrolled: 1-line block ×6, first 2 shown]
	v_mul_f64 v[4:5], v[38:39], s[0:1]
	v_mul_f64 v[6:7], v[42:43], s[0:1]
	v_add_f64 v[16:17], v[16:17], v[32:33]
	v_add_f64 v[18:19], v[18:19], v[34:35]
	v_fmac_f64_e32 v[24:25], s[18:19], v[44:45]
	v_fmac_f64_e32 v[26:27], s[18:19], v[46:47]
	v_fma_f64 v[4:5], v[36:37], s[14:15], -v[4:5]
	v_fma_f64 v[6:7], v[40:41], s[14:15], -v[6:7]
	v_add_f64 v[12:13], v[26:27], v[16:17]
	v_add_f64 v[14:15], v[18:19], -v[24:25]
	v_add_f64 v[16:17], v[16:17], -v[26:27]
	v_add_f64 v[18:19], v[24:25], v[18:19]
	v_fma_f64 v[24:25], s[0:1], v[38:39], v[28:29]
	v_fmac_f64_e32 v[30:31], s[0:1], v[42:43]
	v_fma_f64 v[26:27], s[20:21], v[20:21], v[48:49]
	v_fmac_f64_e32 v[50:51], s[20:21], v[22:23]
	v_add_f64 v[8:9], v[4:5], v[32:33]
	v_add_f64 v[10:11], v[6:7], v[34:35]
	v_fmac_f64_e32 v[52:53], s[18:19], v[44:45]
	v_fmac_f64_e32 v[54:55], s[18:19], v[46:47]
	v_add_f64 v[24:25], v[24:25], v[32:33]
	v_add_f64 v[28:29], v[30:31], v[34:35]
	v_fmac_f64_e32 v[26:27], s[18:19], v[44:45]
	v_fmac_f64_e32 v[50:51], s[18:19], v[46:47]
	v_add_f64 v[4:5], v[8:9], -v[54:55]
	v_add_f64 v[6:7], v[52:53], v[10:11]
	v_add_f64 v[8:9], v[54:55], v[8:9]
	v_add_f64 v[10:11], v[10:11], -v[52:53]
	v_add_f64 v[20:21], v[50:51], v[24:25]
	v_add_f64 v[22:23], v[28:29], -v[26:27]
	v_add_f64 v[24:25], v[24:25], -v[50:51]
	v_add_f64 v[26:27], v[26:27], v[28:29]
	ds_write_b128 v232, v[0:3] offset:25088
	ds_write_b128 v232, v[20:23] offset:25984
	;; [unrolled: 1-line block ×7, first 2 shown]
	s_waitcnt lgkmcnt(0)
	; wave barrier
	s_waitcnt lgkmcnt(0)
	ds_read_b128 v[0:3], v224 offset:6272
	v_accvgpr_read_b32 v4, a92
	v_accvgpr_read_b32 v6, a94
	v_accvgpr_read_b32 v7, a95
	v_accvgpr_read_b32 v5, a93
	s_waitcnt lgkmcnt(0)
	v_mul_f64 v[32:33], v[6:7], v[2:3]
	v_fmac_f64_e32 v[32:33], v[4:5], v[0:1]
	v_mul_f64 v[0:1], v[6:7], v[0:1]
	v_fma_f64 v[8:9], v[4:5], v[2:3], -v[0:1]
	ds_read_b128 v[0:3], v224 offset:12544
	v_accvgpr_read_b32 v4, a124
	v_accvgpr_read_b32 v6, a126
	v_accvgpr_read_b32 v7, a127
	v_accvgpr_read_b32 v5, a125
	s_waitcnt lgkmcnt(0)
	v_mul_f64 v[60:61], v[6:7], v[2:3]
	v_fmac_f64_e32 v[60:61], v[4:5], v[0:1]
	v_mul_f64 v[0:1], v[6:7], v[0:1]
	v_fma_f64 v[10:11], v[4:5], v[2:3], -v[0:1]
	;; [unrolled: 10-line block ×4, first 2 shown]
	ds_read_b128 v[0:3], v224 offset:7168
	s_mov_b32 s2, 0x134454ff
	s_mov_b32 s3, 0xbfee6f0e
	;; [unrolled: 1-line block ×3, first 2 shown]
	v_add_f64 v[128:129], v[8:9], -v[62:63]
	s_waitcnt lgkmcnt(0)
	v_mul_f64 v[16:17], v[6:7], v[2:3]
	v_fmac_f64_e32 v[16:17], v[4:5], v[0:1]
	v_mul_f64 v[0:1], v[6:7], v[0:1]
	v_fma_f64 v[12:13], v[4:5], v[2:3], -v[0:1]
	ds_read_b128 v[0:3], v224 offset:13440
	v_accvgpr_read_b32 v4, a50
	v_accvgpr_read_b32 v6, a52
	v_accvgpr_read_b32 v7, a53
	v_accvgpr_read_b32 v5, a51
	s_waitcnt lgkmcnt(0)
	v_mul_f64 v[34:35], v[6:7], v[2:3]
	v_fmac_f64_e32 v[34:35], v[4:5], v[0:1]
	v_mul_f64 v[0:1], v[6:7], v[0:1]
	v_fma_f64 v[14:15], v[4:5], v[2:3], -v[0:1]
	ds_read_b128 v[0:3], v224 offset:19712
	v_accvgpr_read_b32 v4, a58
	v_accvgpr_read_b32 v6, a60
	v_accvgpr_read_b32 v7, a61
	v_accvgpr_read_b32 v5, a59
	s_waitcnt lgkmcnt(0)
	v_mul_f64 v[38:39], v[6:7], v[2:3]
	v_fmac_f64_e32 v[38:39], v[4:5], v[0:1]
	v_mul_f64 v[0:1], v[6:7], v[0:1]
	v_fma_f64 v[20:21], v[4:5], v[2:3], -v[0:1]
	ds_read_b128 v[0:3], v224 offset:25984
	v_accvgpr_read_b32 v4, a128
	v_accvgpr_read_b32 v6, a130
	v_accvgpr_read_b32 v7, a131
	v_accvgpr_read_b32 v5, a129
	s_waitcnt lgkmcnt(0)
	v_mul_f64 v[56:57], v[6:7], v[2:3]
	v_fmac_f64_e32 v[56:57], v[4:5], v[0:1]
	v_mul_f64 v[0:1], v[6:7], v[0:1]
	v_fma_f64 v[36:37], v[4:5], v[2:3], -v[0:1]
	ds_read_b128 v[0:3], v224 offset:8064
	v_accvgpr_read_b32 v4, a18
	v_accvgpr_read_b32 v6, a20
	v_accvgpr_read_b32 v7, a21
	v_accvgpr_read_b32 v5, a19
	s_waitcnt lgkmcnt(0)
	v_mul_f64 v[18:19], v[6:7], v[2:3]
	v_fmac_f64_e32 v[18:19], v[4:5], v[0:1]
	v_mul_f64 v[0:1], v[6:7], v[0:1]
	v_fma_f64 v[22:23], v[4:5], v[2:3], -v[0:1]
	ds_read_b128 v[0:3], v224 offset:14336
	v_accvgpr_read_b32 v4, a30
	v_accvgpr_read_b32 v6, a32
	v_accvgpr_read_b32 v7, a33
	v_accvgpr_read_b32 v5, a31
	s_waitcnt lgkmcnt(0)
	v_mul_f64 v[28:29], v[6:7], v[2:3]
	v_fmac_f64_e32 v[28:29], v[4:5], v[0:1]
	v_mul_f64 v[0:1], v[6:7], v[0:1]
	v_fma_f64 v[24:25], v[4:5], v[2:3], -v[0:1]
	ds_read_b128 v[0:3], v224 offset:20608
	v_accvgpr_read_b32 v4, a14
	v_accvgpr_read_b32 v6, a16
	v_accvgpr_read_b32 v7, a17
	v_accvgpr_read_b32 v5, a15
	s_waitcnt lgkmcnt(0)
	v_mul_f64 v[40:41], v[6:7], v[2:3]
	v_fmac_f64_e32 v[40:41], v[4:5], v[0:1]
	v_mul_f64 v[0:1], v[6:7], v[0:1]
	v_fma_f64 v[26:27], v[4:5], v[2:3], -v[0:1]
	ds_read_b128 v[0:3], v224 offset:26880
	v_accvgpr_read_b32 v4, a42
	v_accvgpr_read_b32 v6, a44
	v_accvgpr_read_b32 v7, a45
	v_accvgpr_read_b32 v5, a43
	s_waitcnt lgkmcnt(0)
	v_mul_f64 v[44:45], v[6:7], v[2:3]
	v_fmac_f64_e32 v[44:45], v[4:5], v[0:1]
	v_mul_f64 v[0:1], v[6:7], v[0:1]
	v_fma_f64 v[30:31], v[4:5], v[2:3], -v[0:1]
	ds_read_b128 v[0:3], v224 offset:8960
	v_accvgpr_read_b32 v4, a34
	v_accvgpr_read_b32 v6, a36
	v_accvgpr_read_b32 v7, a37
	v_accvgpr_read_b32 v5, a35
	s_waitcnt lgkmcnt(0)
	v_mul_f64 v[42:43], v[6:7], v[2:3]
	v_fmac_f64_e32 v[42:43], v[4:5], v[0:1]
	v_mul_f64 v[0:1], v[6:7], v[0:1]
	v_fma_f64 v[46:47], v[4:5], v[2:3], -v[0:1]
	ds_read_b128 v[0:3], v224 offset:15232
	v_accvgpr_read_b32 v4, a66
	v_accvgpr_read_b32 v6, a68
	v_accvgpr_read_b32 v7, a69
	v_accvgpr_read_b32 v5, a67
	s_waitcnt lgkmcnt(0)
	v_mul_f64 v[52:53], v[6:7], v[2:3]
	v_fmac_f64_e32 v[52:53], v[4:5], v[0:1]
	v_mul_f64 v[0:1], v[6:7], v[0:1]
	v_fma_f64 v[48:49], v[4:5], v[2:3], -v[0:1]
	ds_read_b128 v[0:3], v224 offset:21504
	v_accvgpr_read_b32 v4, a70
	v_accvgpr_read_b32 v6, a72
	v_accvgpr_read_b32 v7, a73
	v_accvgpr_read_b32 v5, a71
	s_waitcnt lgkmcnt(0)
	v_mul_f64 v[64:65], v[6:7], v[2:3]
	v_fmac_f64_e32 v[64:65], v[4:5], v[0:1]
	v_mul_f64 v[0:1], v[6:7], v[0:1]
	v_fma_f64 v[50:51], v[4:5], v[2:3], -v[0:1]
	ds_read_b128 v[0:3], v224 offset:27776
	v_accvgpr_read_b32 v4, a62
	v_accvgpr_read_b32 v6, a64
	v_accvgpr_read_b32 v7, a65
	v_accvgpr_read_b32 v5, a63
	s_waitcnt lgkmcnt(0)
	v_mul_f64 v[68:69], v[6:7], v[2:3]
	v_fmac_f64_e32 v[68:69], v[4:5], v[0:1]
	v_mul_f64 v[0:1], v[6:7], v[0:1]
	v_fma_f64 v[54:55], v[4:5], v[2:3], -v[0:1]
	ds_read_b128 v[0:3], v224 offset:9856
	v_accvgpr_read_b32 v4, a54
	v_accvgpr_read_b32 v6, a56
	v_accvgpr_read_b32 v7, a57
	v_accvgpr_read_b32 v5, a55
	s_waitcnt lgkmcnt(0)
	v_mul_f64 v[66:67], v[6:7], v[2:3]
	v_fmac_f64_e32 v[66:67], v[4:5], v[0:1]
	v_mul_f64 v[0:1], v[6:7], v[0:1]
	v_fma_f64 v[70:71], v[4:5], v[2:3], -v[0:1]
	ds_read_b128 v[0:3], v224 offset:16128
	v_accvgpr_read_b32 v4, a46
	v_accvgpr_read_b32 v6, a48
	v_accvgpr_read_b32 v7, a49
	v_accvgpr_read_b32 v5, a47
	s_waitcnt lgkmcnt(0)
	v_mul_f64 v[76:77], v[6:7], v[2:3]
	v_fmac_f64_e32 v[76:77], v[4:5], v[0:1]
	v_mul_f64 v[0:1], v[6:7], v[0:1]
	v_fma_f64 v[72:73], v[4:5], v[2:3], -v[0:1]
	ds_read_b128 v[0:3], v224 offset:22400
	v_accvgpr_read_b32 v4, a38
	v_accvgpr_read_b32 v6, a40
	v_accvgpr_read_b32 v7, a41
	v_accvgpr_read_b32 v5, a39
	s_waitcnt lgkmcnt(0)
	v_mul_f64 v[84:85], v[6:7], v[2:3]
	v_fmac_f64_e32 v[84:85], v[4:5], v[0:1]
	v_mul_f64 v[0:1], v[6:7], v[0:1]
	v_fma_f64 v[74:75], v[4:5], v[2:3], -v[0:1]
	ds_read_b128 v[0:3], v224 offset:28672
	s_mov_b32 s13, 0x3fee6f0e
	s_mov_b32 s12, s2
	v_add_f64 v[132:133], v[32:33], -v[82:83]
	s_mov_b32 s1, 0xbfe2cf23
	s_waitcnt lgkmcnt(0)
	v_mul_f64 v[88:89], v[166:167], v[2:3]
	v_fmac_f64_e32 v[88:89], v[164:165], v[0:1]
	v_mul_f64 v[0:1], v[166:167], v[0:1]
	v_fma_f64 v[78:79], v[164:165], v[2:3], -v[0:1]
	ds_read_b128 v[0:3], v224 offset:10752
	v_add_f64 v[130:131], v[10:11], -v[58:59]
	s_mov_b32 s4, 0x372fe950
	s_mov_b32 s15, 0x3fe2cf23
	;; [unrolled: 1-line block ×3, first 2 shown]
	s_waitcnt lgkmcnt(0)
	v_mul_f64 v[86:87], v[170:171], v[2:3]
	v_fmac_f64_e32 v[86:87], v[168:169], v[0:1]
	v_mul_f64 v[0:1], v[170:171], v[0:1]
	v_fma_f64 v[90:91], v[168:169], v[2:3], -v[0:1]
	ds_read_b128 v[0:3], v224 offset:17024
	v_add_f64 v[134:135], v[60:61], -v[80:81]
	s_mov_b32 s5, 0x3fd3c6ef
	s_waitcnt lgkmcnt(0)
	v_mul_f64 v[112:113], v[174:175], v[2:3]
	v_fmac_f64_e32 v[112:113], v[172:173], v[0:1]
	v_mul_f64 v[0:1], v[174:175], v[0:1]
	v_fma_f64 v[108:109], v[172:173], v[2:3], -v[0:1]
	ds_read_b128 v[0:3], v224 offset:23296
	s_waitcnt lgkmcnt(0)
	v_mul_f64 v[116:117], v[178:179], v[2:3]
	v_fmac_f64_e32 v[116:117], v[176:177], v[0:1]
	v_mul_f64 v[0:1], v[178:179], v[0:1]
	v_fma_f64 v[110:111], v[176:177], v[2:3], -v[0:1]
	ds_read_b128 v[0:3], v224 offset:29568
	;; [unrolled: 6-line block ×6, first 2 shown]
	s_waitcnt lgkmcnt(0)
	v_mul_f64 v[106:107], v[198:199], v[2:3]
	v_fmac_f64_e32 v[106:107], v[196:197], v[0:1]
	v_mul_f64 v[0:1], v[198:199], v[0:1]
	v_fma_f64 v[102:103], v[196:197], v[2:3], -v[0:1]
	ds_read_b128 v[0:3], v224
	s_waitcnt lgkmcnt(0)
	v_add_f64 v[4:5], v[0:1], v[32:33]
	v_add_f64 v[6:7], v[2:3], v[8:9]
	;; [unrolled: 1-line block ×8, first 2 shown]
	ds_write_b128 v224, v[4:7]
	v_add_f64 v[4:5], v[32:33], -v[60:61]
	v_add_f64 v[6:7], v[82:83], -v[80:81]
	v_add_f64 v[124:125], v[4:5], v[6:7]
	v_add_f64 v[4:5], v[60:61], v[80:81]
	v_fma_f64 v[120:121], -0.5, v[4:5], v[0:1]
	v_add_f64 v[4:5], v[10:11], v[58:59]
	v_fma_f64 v[122:123], -0.5, v[4:5], v[2:3]
	v_add_f64 v[4:5], v[8:9], -v[10:11]
	v_add_f64 v[6:7], v[62:63], -v[58:59]
	v_add_f64 v[126:127], v[4:5], v[6:7]
	v_fma_f64 v[4:5], s[2:3], v[128:129], v[120:121]
	v_fma_f64 v[6:7], s[12:13], v[132:133], v[122:123]
	v_fmac_f64_e32 v[4:5], s[0:1], v[130:131]
	v_fmac_f64_e32 v[6:7], s[14:15], v[134:135]
	;; [unrolled: 1-line block ×4, first 2 shown]
	ds_write_b128 v224, v[4:7] offset:6272
	v_add_f64 v[4:5], v[32:33], v[82:83]
	v_fmac_f64_e32 v[0:1], -0.5, v[4:5]
	v_add_f64 v[4:5], v[60:61], -v[32:33]
	v_add_f64 v[6:7], v[80:81], -v[82:83]
	v_fma_f64 v[80:81], s[12:13], v[130:131], v[0:1]
	v_fmac_f64_e32 v[0:1], s[2:3], v[130:131]
	v_add_f64 v[4:5], v[4:5], v[6:7]
	v_fmac_f64_e32 v[80:81], s[0:1], v[128:129]
	v_fmac_f64_e32 v[0:1], s[14:15], v[128:129]
	;; [unrolled: 1-line block ×4, first 2 shown]
	v_add_f64 v[4:5], v[8:9], v[62:63]
	v_fmac_f64_e32 v[2:3], -0.5, v[4:5]
	v_add_f64 v[4:5], v[10:11], -v[8:9]
	ds_read_b128 v[8:11], v224 offset:896
	v_add_f64 v[6:7], v[58:59], -v[62:63]
	v_fma_f64 v[82:83], s[2:3], v[134:135], v[2:3]
	v_fmac_f64_e32 v[2:3], s[12:13], v[134:135]
	v_add_f64 v[4:5], v[4:5], v[6:7]
	v_fmac_f64_e32 v[82:83], s[14:15], v[132:133]
	v_fmac_f64_e32 v[2:3], s[0:1], v[132:133]
	v_fmac_f64_e32 v[82:83], s[4:5], v[4:5]
	v_fmac_f64_e32 v[2:3], s[4:5], v[4:5]
	v_add_f64 v[4:5], v[16:17], -v[34:35]
	v_add_f64 v[6:7], v[56:57], -v[38:39]
	v_add_f64 v[6:7], v[4:5], v[6:7]
	v_add_f64 v[4:5], v[34:35], v[38:39]
	s_waitcnt lgkmcnt(0)
	v_fma_f64 v[4:5], -0.5, v[4:5], v[8:9]
	v_add_f64 v[58:59], v[12:13], -v[36:37]
	v_fmac_f64_e32 v[120:121], s[12:13], v[128:129]
	v_add_f64 v[62:63], v[14:15], -v[20:21]
	v_fma_f64 v[60:61], s[2:3], v[58:59], v[4:5]
	v_fmac_f64_e32 v[4:5], s[12:13], v[58:59]
	v_fmac_f64_e32 v[120:121], s[14:15], v[130:131]
	;; [unrolled: 1-line block ×4, first 2 shown]
	v_add_f64 v[32:33], v[16:17], v[56:57]
	v_fmac_f64_e32 v[120:121], s[4:5], v[124:125]
	v_fmac_f64_e32 v[60:61], s[4:5], v[6:7]
	v_fmac_f64_e32 v[4:5], s[4:5], v[6:7]
	v_add_f64 v[6:7], v[8:9], v[16:17]
	v_fmac_f64_e32 v[8:9], -0.5, v[32:33]
	v_add_f64 v[32:33], v[34:35], -v[16:17]
	v_add_f64 v[124:125], v[38:39], -v[56:57]
	v_add_f64 v[124:125], v[32:33], v[124:125]
	v_fma_f64 v[32:33], s[12:13], v[62:63], v[8:9]
	v_fmac_f64_e32 v[8:9], s[2:3], v[62:63]
	v_add_f64 v[6:7], v[6:7], v[34:35]
	v_fmac_f64_e32 v[32:33], s[0:1], v[58:59]
	v_fmac_f64_e32 v[8:9], s[14:15], v[58:59]
	v_add_f64 v[6:7], v[6:7], v[38:39]
	v_fmac_f64_e32 v[32:33], s[4:5], v[124:125]
	v_fmac_f64_e32 v[8:9], s[4:5], v[124:125]
	v_add_f64 v[124:125], v[6:7], v[56:57]
	v_add_f64 v[6:7], v[14:15], v[20:21]
	v_fma_f64 v[6:7], -0.5, v[6:7], v[10:11]
	v_add_f64 v[16:17], v[16:17], -v[56:57]
	v_add_f64 v[38:39], v[34:35], -v[38:39]
	;; [unrolled: 1-line block ×4, first 2 shown]
	v_fma_f64 v[62:63], s[12:13], v[16:17], v[6:7]
	v_fmac_f64_e32 v[6:7], s[2:3], v[16:17]
	v_add_f64 v[34:35], v[34:35], v[56:57]
	v_fmac_f64_e32 v[62:63], s[14:15], v[38:39]
	v_fmac_f64_e32 v[6:7], s[0:1], v[38:39]
	;; [unrolled: 1-line block ×4, first 2 shown]
	v_add_f64 v[34:35], v[12:13], v[36:37]
	v_add_f64 v[58:59], v[10:11], v[12:13]
	v_fmac_f64_e32 v[10:11], -0.5, v[34:35]
	v_add_f64 v[58:59], v[58:59], v[14:15]
	v_add_f64 v[12:13], v[14:15], -v[12:13]
	v_add_f64 v[14:15], v[20:21], -v[36:37]
	v_fma_f64 v[34:35], s[2:3], v[38:39], v[10:11]
	v_fmac_f64_e32 v[10:11], s[12:13], v[38:39]
	v_add_f64 v[12:13], v[12:13], v[14:15]
	v_fmac_f64_e32 v[34:35], s[14:15], v[16:17]
	v_fmac_f64_e32 v[10:11], s[0:1], v[16:17]
	;; [unrolled: 1-line block ×4, first 2 shown]
	ds_read_b128 v[12:15], v224 offset:1792
	v_fmac_f64_e32 v[122:123], s[2:3], v[132:133]
	ds_write_b128 v224, v[0:3] offset:18816
	v_add_f64 v[0:1], v[18:19], -v[28:29]
	v_add_f64 v[2:3], v[44:45], -v[40:41]
	v_fmac_f64_e32 v[122:123], s[0:1], v[134:135]
	v_add_f64 v[58:59], v[58:59], v[20:21]
	v_add_f64 v[2:3], v[0:1], v[2:3]
	;; [unrolled: 1-line block ×3, first 2 shown]
	v_fmac_f64_e32 v[122:123], s[4:5], v[126:127]
	v_add_f64 v[126:127], v[58:59], v[36:37]
	v_add_f64 v[36:37], v[22:23], -v[30:31]
	ds_write_b128 v224, v[60:63] offset:7168
	ds_read_b128 v[60:63], v224 offset:5376
	s_waitcnt lgkmcnt(3)
	v_fma_f64 v[0:1], -0.5, v[0:1], v[12:13]
	v_add_f64 v[38:39], v[24:25], -v[26:27]
	v_fma_f64 v[16:17], s[2:3], v[36:37], v[0:1]
	v_fmac_f64_e32 v[0:1], s[12:13], v[36:37]
	v_fmac_f64_e32 v[16:17], s[0:1], v[38:39]
	;; [unrolled: 1-line block ×3, first 2 shown]
	v_add_f64 v[20:21], v[18:19], v[44:45]
	v_fmac_f64_e32 v[16:17], s[4:5], v[2:3]
	v_fmac_f64_e32 v[0:1], s[4:5], v[2:3]
	v_add_f64 v[2:3], v[12:13], v[18:19]
	v_fmac_f64_e32 v[12:13], -0.5, v[20:21]
	v_add_f64 v[20:21], v[28:29], -v[18:19]
	v_add_f64 v[56:57], v[40:41], -v[44:45]
	v_add_f64 v[56:57], v[20:21], v[56:57]
	v_fma_f64 v[20:21], s[12:13], v[38:39], v[12:13]
	v_fmac_f64_e32 v[12:13], s[2:3], v[38:39]
	v_fmac_f64_e32 v[20:21], s[0:1], v[36:37]
	;; [unrolled: 1-line block ×3, first 2 shown]
	v_add_f64 v[2:3], v[2:3], v[28:29]
	v_add_f64 v[36:37], v[14:15], v[22:23]
	;; [unrolled: 1-line block ×7, first 2 shown]
	v_fma_f64 v[2:3], -0.5, v[2:3], v[14:15]
	v_add_f64 v[44:45], v[18:19], -v[44:45]
	v_add_f64 v[28:29], v[28:29], -v[40:41]
	;; [unrolled: 1-line block ×4, first 2 shown]
	v_add_f64 v[40:41], v[18:19], v[40:41]
	v_fma_f64 v[18:19], s[12:13], v[44:45], v[2:3]
	v_fmac_f64_e32 v[2:3], s[2:3], v[44:45]
	v_fmac_f64_e32 v[18:19], s[14:15], v[28:29]
	v_fmac_f64_e32 v[2:3], s[0:1], v[28:29]
	v_fmac_f64_e32 v[18:19], s[4:5], v[40:41]
	v_fmac_f64_e32 v[2:3], s[4:5], v[40:41]
	v_add_f64 v[40:41], v[22:23], v[30:31]
	v_fmac_f64_e32 v[14:15], -0.5, v[40:41]
	v_add_f64 v[22:23], v[24:25], -v[22:23]
	v_add_f64 v[24:25], v[26:27], -v[30:31]
	v_add_f64 v[38:39], v[38:39], v[30:31]
	v_add_f64 v[24:25], v[22:23], v[24:25]
	v_fma_f64 v[22:23], s[2:3], v[28:29], v[14:15]
	v_fmac_f64_e32 v[14:15], s[12:13], v[28:29]
	ds_read_b128 v[28:31], v224 offset:2688
	v_fmac_f64_e32 v[22:23], s[14:15], v[44:45]
	v_fmac_f64_e32 v[14:15], s[0:1], v[44:45]
	;; [unrolled: 1-line block ×4, first 2 shown]
	v_add_f64 v[24:25], v[42:43], -v[52:53]
	v_add_f64 v[26:27], v[68:69], -v[64:65]
	v_add_f64 v[26:27], v[24:25], v[26:27]
	v_add_f64 v[24:25], v[52:53], v[64:65]
	v_fmac_f64_e32 v[20:21], s[4:5], v[56:57]
	v_fmac_f64_e32 v[12:13], s[4:5], v[56:57]
	s_waitcnt lgkmcnt(0)
	v_fma_f64 v[24:25], -0.5, v[24:25], v[28:29]
	v_add_f64 v[56:57], v[46:47], -v[54:55]
	v_add_f64 v[58:59], v[48:49], -v[50:51]
	v_fma_f64 v[40:41], s[2:3], v[56:57], v[24:25]
	v_fmac_f64_e32 v[24:25], s[12:13], v[56:57]
	v_fmac_f64_e32 v[40:41], s[0:1], v[58:59]
	;; [unrolled: 1-line block ×3, first 2 shown]
	v_add_f64 v[44:45], v[42:43], v[68:69]
	ds_write_b128 v224, v[80:83] offset:12544
	v_fmac_f64_e32 v[40:41], s[4:5], v[26:27]
	v_fmac_f64_e32 v[24:25], s[4:5], v[26:27]
	v_add_f64 v[26:27], v[28:29], v[42:43]
	v_fmac_f64_e32 v[28:29], -0.5, v[44:45]
	v_add_f64 v[44:45], v[52:53], -v[42:43]
	v_add_f64 v[80:81], v[64:65], -v[68:69]
	v_add_f64 v[80:81], v[44:45], v[80:81]
	v_fma_f64 v[44:45], s[12:13], v[58:59], v[28:29]
	v_fmac_f64_e32 v[28:29], s[2:3], v[58:59]
	v_fmac_f64_e32 v[44:45], s[0:1], v[56:57]
	;; [unrolled: 1-line block ×3, first 2 shown]
	v_add_f64 v[26:27], v[26:27], v[52:53]
	v_add_f64 v[56:57], v[30:31], v[46:47]
	;; [unrolled: 1-line block ×7, first 2 shown]
	v_fma_f64 v[26:27], -0.5, v[26:27], v[30:31]
	v_add_f64 v[68:69], v[42:43], -v[68:69]
	v_add_f64 v[52:53], v[52:53], -v[64:65]
	;; [unrolled: 1-line block ×4, first 2 shown]
	v_add_f64 v[64:65], v[42:43], v[64:65]
	v_fma_f64 v[42:43], s[12:13], v[68:69], v[26:27]
	v_fmac_f64_e32 v[26:27], s[2:3], v[68:69]
	v_fmac_f64_e32 v[42:43], s[14:15], v[52:53]
	;; [unrolled: 1-line block ×5, first 2 shown]
	v_add_f64 v[64:65], v[46:47], v[54:55]
	v_fmac_f64_e32 v[30:31], -0.5, v[64:65]
	v_add_f64 v[46:47], v[48:49], -v[46:47]
	v_add_f64 v[48:49], v[50:51], -v[54:55]
	v_add_f64 v[48:49], v[46:47], v[48:49]
	v_fma_f64 v[46:47], s[2:3], v[52:53], v[30:31]
	v_fmac_f64_e32 v[30:31], s[12:13], v[52:53]
	v_fmac_f64_e32 v[46:47], s[14:15], v[68:69]
	;; [unrolled: 1-line block ×5, first 2 shown]
	ds_read_b128 v[48:51], v224 offset:3584
	v_add_f64 v[58:59], v[58:59], v[54:55]
	v_add_f64 v[52:53], v[66:67], -v[76:77]
	v_add_f64 v[54:55], v[88:89], -v[84:85]
	v_add_f64 v[54:55], v[52:53], v[54:55]
	v_add_f64 v[52:53], v[76:77], v[84:85]
	v_fmac_f64_e32 v[44:45], s[4:5], v[80:81]
	v_fmac_f64_e32 v[28:29], s[4:5], v[80:81]
	s_waitcnt lgkmcnt(0)
	v_fma_f64 v[52:53], -0.5, v[52:53], v[48:49]
	v_add_f64 v[80:81], v[70:71], -v[78:79]
	v_add_f64 v[82:83], v[72:73], -v[74:75]
	v_fma_f64 v[64:65], s[2:3], v[80:81], v[52:53]
	v_fmac_f64_e32 v[52:53], s[12:13], v[80:81]
	v_fmac_f64_e32 v[64:65], s[0:1], v[82:83]
	;; [unrolled: 1-line block ×3, first 2 shown]
	v_add_f64 v[68:69], v[66:67], v[88:89]
	ds_write_b128 v224, v[120:123] offset:25088
	v_fmac_f64_e32 v[64:65], s[4:5], v[54:55]
	v_fmac_f64_e32 v[52:53], s[4:5], v[54:55]
	v_add_f64 v[54:55], v[48:49], v[66:67]
	v_fmac_f64_e32 v[48:49], -0.5, v[68:69]
	v_add_f64 v[68:69], v[76:77], -v[66:67]
	v_add_f64 v[120:121], v[84:85], -v[88:89]
	v_add_f64 v[120:121], v[68:69], v[120:121]
	v_fma_f64 v[68:69], s[12:13], v[82:83], v[48:49]
	v_fmac_f64_e32 v[48:49], s[2:3], v[82:83]
	v_fmac_f64_e32 v[68:69], s[0:1], v[80:81]
	;; [unrolled: 1-line block ×3, first 2 shown]
	v_add_f64 v[54:55], v[54:55], v[76:77]
	v_add_f64 v[80:81], v[50:51], v[70:71]
	;; [unrolled: 1-line block ×7, first 2 shown]
	v_fma_f64 v[54:55], -0.5, v[54:55], v[50:51]
	v_add_f64 v[88:89], v[66:67], -v[88:89]
	v_add_f64 v[76:77], v[76:77], -v[84:85]
	;; [unrolled: 1-line block ×4, first 2 shown]
	v_add_f64 v[84:85], v[66:67], v[84:85]
	v_fma_f64 v[66:67], s[12:13], v[88:89], v[54:55]
	v_fmac_f64_e32 v[54:55], s[2:3], v[88:89]
	v_fmac_f64_e32 v[66:67], s[14:15], v[76:77]
	;; [unrolled: 1-line block ×5, first 2 shown]
	v_add_f64 v[84:85], v[70:71], v[78:79]
	v_fmac_f64_e32 v[50:51], -0.5, v[84:85]
	v_add_f64 v[70:71], v[72:73], -v[70:71]
	v_add_f64 v[72:73], v[74:75], -v[78:79]
	v_add_f64 v[82:83], v[82:83], v[78:79]
	v_add_f64 v[72:73], v[70:71], v[72:73]
	v_fma_f64 v[70:71], s[2:3], v[76:77], v[50:51]
	v_fmac_f64_e32 v[50:51], s[12:13], v[76:77]
	ds_read_b128 v[76:79], v224 offset:4480
	v_fmac_f64_e32 v[70:71], s[14:15], v[88:89]
	v_fmac_f64_e32 v[50:51], s[0:1], v[88:89]
	;; [unrolled: 1-line block ×4, first 2 shown]
	v_add_f64 v[72:73], v[86:87], -v[112:113]
	v_add_f64 v[74:75], v[118:119], -v[116:117]
	v_add_f64 v[74:75], v[72:73], v[74:75]
	v_add_f64 v[72:73], v[112:113], v[116:117]
	v_fmac_f64_e32 v[68:69], s[4:5], v[120:121]
	v_fmac_f64_e32 v[48:49], s[4:5], v[120:121]
	s_waitcnt lgkmcnt(0)
	v_fma_f64 v[72:73], -0.5, v[72:73], v[76:77]
	v_add_f64 v[120:121], v[90:91], -v[114:115]
	v_add_f64 v[122:123], v[108:109], -v[110:111]
	v_fma_f64 v[84:85], s[2:3], v[120:121], v[72:73]
	v_fmac_f64_e32 v[72:73], s[12:13], v[120:121]
	v_fmac_f64_e32 v[84:85], s[0:1], v[122:123]
	;; [unrolled: 1-line block ×3, first 2 shown]
	v_add_f64 v[88:89], v[86:87], v[118:119]
	ds_write_b128 v224, v[124:127] offset:896
	v_fmac_f64_e32 v[84:85], s[4:5], v[74:75]
	v_fmac_f64_e32 v[72:73], s[4:5], v[74:75]
	v_add_f64 v[74:75], v[76:77], v[86:87]
	v_fmac_f64_e32 v[76:77], -0.5, v[88:89]
	v_add_f64 v[88:89], v[112:113], -v[86:87]
	v_add_f64 v[124:125], v[116:117], -v[118:119]
	v_add_f64 v[124:125], v[88:89], v[124:125]
	v_fma_f64 v[88:89], s[12:13], v[122:123], v[76:77]
	v_fmac_f64_e32 v[76:77], s[2:3], v[122:123]
	v_fmac_f64_e32 v[88:89], s[0:1], v[120:121]
	;; [unrolled: 1-line block ×3, first 2 shown]
	v_add_f64 v[74:75], v[74:75], v[112:113]
	v_add_f64 v[120:121], v[78:79], v[90:91]
	;; [unrolled: 1-line block ×7, first 2 shown]
	v_fma_f64 v[74:75], -0.5, v[74:75], v[78:79]
	v_add_f64 v[118:119], v[86:87], -v[118:119]
	v_add_f64 v[112:113], v[112:113], -v[116:117]
	;; [unrolled: 1-line block ×4, first 2 shown]
	v_add_f64 v[116:117], v[86:87], v[116:117]
	v_fma_f64 v[86:87], s[12:13], v[118:119], v[74:75]
	v_fmac_f64_e32 v[74:75], s[2:3], v[118:119]
	v_fmac_f64_e32 v[86:87], s[14:15], v[112:113]
	;; [unrolled: 1-line block ×5, first 2 shown]
	v_add_f64 v[116:117], v[90:91], v[114:115]
	v_fmac_f64_e32 v[78:79], -0.5, v[116:117]
	v_add_f64 v[90:91], v[108:109], -v[90:91]
	v_add_f64 v[108:109], v[110:111], -v[114:115]
	v_add_f64 v[108:109], v[90:91], v[108:109]
	v_fma_f64 v[90:91], s[2:3], v[112:113], v[78:79]
	v_fmac_f64_e32 v[78:79], s[12:13], v[112:113]
	ds_write_b128 v224, v[32:35] offset:13440
	v_add_f64 v[32:33], v[96:97], -v[100:101]
	v_add_f64 v[34:35], v[106:107], -v[104:105]
	v_fmac_f64_e32 v[90:91], s[14:15], v[118:119]
	v_fmac_f64_e32 v[78:79], s[0:1], v[118:119]
	v_add_f64 v[32:33], v[32:33], v[34:35]
	v_add_f64 v[34:35], v[100:101], v[104:105]
	v_fmac_f64_e32 v[90:91], s[4:5], v[108:109]
	v_fmac_f64_e32 v[78:79], s[4:5], v[108:109]
	v_fma_f64 v[108:109], -0.5, v[34:35], v[60:61]
	v_add_f64 v[34:35], v[92:93], -v[102:103]
	v_add_f64 v[110:111], v[94:95], -v[98:99]
	v_fma_f64 v[112:113], s[2:3], v[34:35], v[108:109]
	v_fmac_f64_e32 v[108:109], s[12:13], v[34:35]
	v_add_f64 v[122:123], v[122:123], v[114:115]
	v_fmac_f64_e32 v[112:113], s[0:1], v[110:111]
	v_fmac_f64_e32 v[108:109], s[14:15], v[110:111]
	v_add_f64 v[114:115], v[96:97], v[106:107]
	v_fmac_f64_e32 v[112:113], s[4:5], v[32:33]
	v_fmac_f64_e32 v[108:109], s[4:5], v[32:33]
	v_add_f64 v[32:33], v[60:61], v[96:97]
	v_fmac_f64_e32 v[60:61], -0.5, v[114:115]
	v_add_f64 v[114:115], v[100:101], -v[96:97]
	v_add_f64 v[116:117], v[104:105], -v[106:107]
	v_add_f64 v[114:115], v[114:115], v[116:117]
	v_fma_f64 v[116:117], s[12:13], v[110:111], v[60:61]
	v_fmac_f64_e32 v[60:61], s[2:3], v[110:111]
	v_add_f64 v[32:33], v[32:33], v[100:101]
	v_fmac_f64_e32 v[116:117], s[0:1], v[34:35]
	v_fmac_f64_e32 v[60:61], s[14:15], v[34:35]
	v_add_f64 v[32:33], v[32:33], v[104:105]
	v_add_f64 v[34:35], v[62:63], v[92:93]
	v_fmac_f64_e32 v[88:89], s[4:5], v[124:125]
	v_fmac_f64_e32 v[76:77], s[4:5], v[124:125]
	v_add_f64 v[34:35], v[34:35], v[94:95]
	v_add_f64 v[124:125], v[32:33], v[106:107]
	;; [unrolled: 1-line block ×4, first 2 shown]
	v_fma_f64 v[110:111], -0.5, v[32:33], v[62:63]
	v_add_f64 v[32:33], v[96:97], -v[106:107]
	v_fmac_f64_e32 v[116:117], s[4:5], v[114:115]
	v_fmac_f64_e32 v[60:61], s[4:5], v[114:115]
	v_add_f64 v[126:127], v[34:35], v[102:103]
	v_add_f64 v[34:35], v[100:101], -v[104:105]
	v_add_f64 v[96:97], v[92:93], -v[94:95]
	;; [unrolled: 1-line block ×3, first 2 shown]
	v_fma_f64 v[114:115], s[12:13], v[32:33], v[110:111]
	v_fmac_f64_e32 v[110:111], s[2:3], v[32:33]
	v_add_f64 v[96:97], v[96:97], v[100:101]
	v_fmac_f64_e32 v[114:115], s[14:15], v[34:35]
	v_fmac_f64_e32 v[110:111], s[0:1], v[34:35]
	;; [unrolled: 1-line block ×4, first 2 shown]
	v_add_f64 v[96:97], v[92:93], v[102:103]
	v_fmac_f64_e32 v[62:63], -0.5, v[96:97]
	v_add_f64 v[92:93], v[94:95], -v[92:93]
	v_add_f64 v[94:95], v[98:99], -v[102:103]
	v_add_f64 v[92:93], v[92:93], v[94:95]
	v_fma_f64 v[118:119], s[2:3], v[34:35], v[62:63]
	v_fmac_f64_e32 v[62:63], s[12:13], v[34:35]
	v_accvgpr_read_b32 v94, a74
	v_fmac_f64_e32 v[118:119], s[14:15], v[32:33]
	v_fmac_f64_e32 v[62:63], s[0:1], v[32:33]
	v_mad_u64_u32 v[32:33], s[0:1], s10, v94, 0
	v_mov_b32_e32 v34, v33
	v_fmac_f64_e32 v[118:119], s[4:5], v[92:93]
	v_fmac_f64_e32 v[62:63], s[4:5], v[92:93]
	ds_write_b128 v224, v[8:11] offset:19712
	ds_write_b128 v224, v[4:7] offset:25984
	;; [unrolled: 1-line block ×27, first 2 shown]
	v_mad_u64_u32 v[4:5], s[0:1], s11, v94, v[34:35]
	s_waitcnt lgkmcnt(0)
	; wave barrier
	s_waitcnt lgkmcnt(0)
	ds_read_b128 v[0:3], v224
	v_mov_b32_e32 v33, v4
	ds_read_b128 v[4:7], v224 offset:896
	buffer_load_dword v10, off, s[36:39], 0 offset:296 ; 4-byte Folded Reload
	buffer_load_dword v11, off, s[36:39], 0 offset:300 ; 4-byte Folded Reload
	;; [unrolled: 1-line block ×4, first 2 shown]
	s_mov_b32 s2, 0xec259dc8
	s_mov_b32 s3, 0x3f40b7e6
	s_waitcnt vmcnt(0) lgkmcnt(1)
	v_mul_f64 v[8:9], v[12:13], v[2:3]
	v_fmac_f64_e32 v[8:9], v[10:11], v[0:1]
	v_mul_f64 v[0:1], v[12:13], v[0:1]
	v_fma_f64 v[0:1], v[10:11], v[2:3], -v[0:1]
	v_accvgpr_read_b32 v12, a4
	v_mul_f64 v[10:11], v[0:1], s[2:3]
	v_mad_u64_u32 v[0:1], s[0:1], s8, v12, 0
	v_mov_b32_e32 v2, v1
	v_mad_u64_u32 v[2:3], s[0:1], s9, v12, v[2:3]
	v_mov_b32_e32 v1, v2
	v_lshlrev_b64 v[2:3], 4, v[32:33]
	v_mov_b32_e32 v12, s17
	v_add_co_u32_e64 v2, s[0:1], s16, v2
	v_addc_co_u32_e64 v3, s[0:1], v12, v3, s[0:1]
	v_lshlrev_b64 v[0:1], 4, v[0:1]
	v_add_co_u32_e64 v20, s[0:1], v2, v0
	v_mul_f64 v[8:9], v[8:9], s[2:3]
	v_addc_co_u32_e64 v21, s[0:1], v3, v1, s[0:1]
	global_store_dwordx4 v[20:21], v[8:11], off
	ds_read_b128 v[12:15], v224 offset:7840
	ds_read_b128 v[8:11], v224 offset:8736
	buffer_load_dword v22, off, s[36:39], 0 offset:584 ; 4-byte Folded Reload
	buffer_load_dword v23, off, s[36:39], 0 offset:588 ; 4-byte Folded Reload
	buffer_load_dword v24, off, s[36:39], 0 offset:592 ; 4-byte Folded Reload
	buffer_load_dword v25, off, s[36:39], 0 offset:596 ; 4-byte Folded Reload
	s_mul_i32 s0, s9, 0x1ea
	s_mul_hi_u32 s1, s8, 0x1ea
	s_add_i32 s1, s1, s0
	s_mul_i32 s0, s8, 0x1ea
	s_lshl_b64 s[4:5], s[0:1], 4
	s_waitcnt vmcnt(0) lgkmcnt(1)
	v_mul_f64 v[0:1], v[24:25], v[14:15]
	v_fmac_f64_e32 v[0:1], v[22:23], v[12:13]
	v_mul_f64 v[16:17], v[0:1], s[2:3]
	v_mul_f64 v[0:1], v[24:25], v[12:13]
	v_fma_f64 v[0:1], v[22:23], v[14:15], -v[0:1]
	v_mul_f64 v[18:19], v[0:1], s[2:3]
	v_mov_b32_e32 v1, s5
	v_add_co_u32_e64 v24, s[0:1], s4, v20
	v_addc_co_u32_e64 v25, s[0:1], v21, v1, s[0:1]
	global_store_dwordx4 v[24:25], v[16:19], off
	ds_read_b128 v[12:15], v224 offset:15680
	ds_read_b128 v[16:19], v224 offset:16576
	buffer_load_dword v26, off, s[36:39], 0 offset:568 ; 4-byte Folded Reload
	buffer_load_dword v27, off, s[36:39], 0 offset:572 ; 4-byte Folded Reload
	;; [unrolled: 1-line block ×4, first 2 shown]
	v_mov_b32_e32 v0, 0xffffa7a0
	s_waitcnt vmcnt(0) lgkmcnt(1)
	v_mul_f64 v[20:21], v[28:29], v[14:15]
	v_fmac_f64_e32 v[20:21], v[26:27], v[12:13]
	v_mul_f64 v[12:13], v[28:29], v[12:13]
	v_fma_f64 v[12:13], v[26:27], v[14:15], -v[12:13]
	v_add_co_u32_e64 v28, s[0:1], s4, v24
	v_mul_f64 v[20:21], v[20:21], s[2:3]
	v_mul_f64 v[22:23], v[12:13], s[2:3]
	v_addc_co_u32_e64 v29, s[0:1], v25, v1, s[0:1]
	global_store_dwordx4 v[28:29], v[20:23], off
	ds_read_b128 v[12:15], v224 offset:23520
	ds_read_b128 v[20:23], v224 offset:24416
	buffer_load_dword v30, off, s[36:39], 0 offset:552 ; 4-byte Folded Reload
	buffer_load_dword v31, off, s[36:39], 0 offset:556 ; 4-byte Folded Reload
	;; [unrolled: 1-line block ×4, first 2 shown]
	v_add_co_u32_e64 v28, s[0:1], s4, v28
	v_addc_co_u32_e64 v29, s[0:1], v29, v1, s[0:1]
	s_waitcnt vmcnt(0) lgkmcnt(1)
	v_mul_f64 v[24:25], v[32:33], v[14:15]
	v_fmac_f64_e32 v[24:25], v[30:31], v[12:13]
	v_mul_f64 v[12:13], v[32:33], v[12:13]
	v_fma_f64 v[12:13], v[30:31], v[14:15], -v[12:13]
	v_mul_f64 v[24:25], v[24:25], s[2:3]
	v_mul_f64 v[26:27], v[12:13], s[2:3]
	global_store_dwordx4 v[28:29], v[24:27], off
	buffer_load_dword v24, off, s[36:39], 0 offset:536 ; 4-byte Folded Reload
	s_nop 0
	buffer_load_dword v25, off, s[36:39], 0 offset:540 ; 4-byte Folded Reload
	buffer_load_dword v26, off, s[36:39], 0 offset:544 ; 4-byte Folded Reload
	;; [unrolled: 1-line block ×3, first 2 shown]
	s_waitcnt vmcnt(0)
	v_mul_f64 v[12:13], v[26:27], v[6:7]
	v_fmac_f64_e32 v[12:13], v[24:25], v[4:5]
	v_mul_f64 v[4:5], v[26:27], v[4:5]
	v_fma_f64 v[4:5], v[24:25], v[6:7], -v[4:5]
	v_mad_u64_u32 v[24:25], s[0:1], s8, v0, v[28:29]
	s_mul_i32 s0, s9, 0xffffa7a0
	s_sub_i32 s10, s0, s8
	v_mul_f64 v[12:13], v[12:13], s[2:3]
	v_mul_f64 v[14:15], v[4:5], s[2:3]
	v_add_u32_e32 v25, s10, v25
	global_store_dwordx4 v[24:25], v[12:15], off
	buffer_load_dword v12, off, s[36:39], 0 offset:520 ; 4-byte Folded Reload
	s_nop 0
	buffer_load_dword v13, off, s[36:39], 0 offset:524 ; 4-byte Folded Reload
	buffer_load_dword v14, off, s[36:39], 0 offset:528 ; 4-byte Folded Reload
	;; [unrolled: 1-line block ×3, first 2 shown]
	s_waitcnt vmcnt(0)
	v_mul_f64 v[4:5], v[14:15], v[10:11]
	v_mul_f64 v[6:7], v[14:15], v[8:9]
	v_fmac_f64_e32 v[4:5], v[12:13], v[8:9]
	v_fma_f64 v[6:7], v[12:13], v[10:11], -v[6:7]
	v_add_co_u32_e64 v8, s[0:1], s4, v24
	v_mul_f64 v[4:5], v[4:5], s[2:3]
	v_mul_f64 v[6:7], v[6:7], s[2:3]
	v_addc_co_u32_e64 v9, s[0:1], v25, v1, s[0:1]
	global_store_dwordx4 v[8:9], v[4:7], off
	buffer_load_dword v10, off, s[36:39], 0 offset:504 ; 4-byte Folded Reload
	buffer_load_dword v11, off, s[36:39], 0 offset:508 ; 4-byte Folded Reload
	;; [unrolled: 1-line block ×4, first 2 shown]
	s_waitcnt vmcnt(0)
	v_mul_f64 v[4:5], v[12:13], v[18:19]
	v_mul_f64 v[6:7], v[12:13], v[16:17]
	v_fmac_f64_e32 v[4:5], v[10:11], v[16:17]
	v_fma_f64 v[6:7], v[10:11], v[18:19], -v[6:7]
	v_add_co_u32_e64 v12, s[0:1], s4, v8
	v_mul_f64 v[4:5], v[4:5], s[2:3]
	v_mul_f64 v[6:7], v[6:7], s[2:3]
	v_addc_co_u32_e64 v13, s[0:1], v9, v1, s[0:1]
	global_store_dwordx4 v[12:13], v[4:7], off
	buffer_load_dword v8, off, s[36:39], 0 offset:488 ; 4-byte Folded Reload
	buffer_load_dword v9, off, s[36:39], 0 offset:492 ; 4-byte Folded Reload
	buffer_load_dword v10, off, s[36:39], 0 offset:496 ; 4-byte Folded Reload
	buffer_load_dword v11, off, s[36:39], 0 offset:500 ; 4-byte Folded Reload
	v_add_co_u32_e64 v16, s[0:1], s4, v12
	v_addc_co_u32_e64 v17, s[0:1], v13, v1, s[0:1]
	s_waitcnt vmcnt(0) lgkmcnt(0)
	v_mul_f64 v[4:5], v[10:11], v[22:23]
	v_mul_f64 v[6:7], v[10:11], v[20:21]
	v_fmac_f64_e32 v[4:5], v[8:9], v[20:21]
	v_fma_f64 v[6:7], v[8:9], v[22:23], -v[6:7]
	v_mul_f64 v[4:5], v[4:5], s[2:3]
	v_mul_f64 v[6:7], v[6:7], s[2:3]
	global_store_dwordx4 v[16:17], v[4:7], off
	ds_read_b128 v[8:11], v224 offset:1792
	ds_read_b128 v[4:7], v224 offset:2688
	buffer_load_dword v18, off, s[36:39], 0 offset:456 ; 4-byte Folded Reload
	buffer_load_dword v19, off, s[36:39], 0 offset:460 ; 4-byte Folded Reload
	;; [unrolled: 1-line block ×4, first 2 shown]
	s_waitcnt vmcnt(0) lgkmcnt(1)
	v_mul_f64 v[12:13], v[20:21], v[10:11]
	v_fmac_f64_e32 v[12:13], v[18:19], v[8:9]
	v_mul_f64 v[8:9], v[20:21], v[8:9]
	v_fma_f64 v[8:9], v[18:19], v[10:11], -v[8:9]
	v_mad_u64_u32 v[20:21], s[0:1], s8, v0, v[16:17]
	v_mul_f64 v[12:13], v[12:13], s[2:3]
	v_mul_f64 v[14:15], v[8:9], s[2:3]
	v_add_u32_e32 v21, s10, v21
	global_store_dwordx4 v[20:21], v[12:15], off
	ds_read_b128 v[8:11], v224 offset:9632
	ds_read_b128 v[12:15], v224 offset:10528
	buffer_load_dword v22, off, s[36:39], 0 offset:440 ; 4-byte Folded Reload
	buffer_load_dword v23, off, s[36:39], 0 offset:444 ; 4-byte Folded Reload
	;; [unrolled: 1-line block ×4, first 2 shown]
	s_waitcnt vmcnt(0) lgkmcnt(1)
	v_mul_f64 v[16:17], v[24:25], v[10:11]
	v_fmac_f64_e32 v[16:17], v[22:23], v[8:9]
	v_mul_f64 v[8:9], v[24:25], v[8:9]
	v_fma_f64 v[8:9], v[22:23], v[10:11], -v[8:9]
	v_add_co_u32_e64 v24, s[0:1], s4, v20
	v_mul_f64 v[16:17], v[16:17], s[2:3]
	v_mul_f64 v[18:19], v[8:9], s[2:3]
	v_addc_co_u32_e64 v25, s[0:1], v21, v1, s[0:1]
	global_store_dwordx4 v[24:25], v[16:19], off
	ds_read_b128 v[8:11], v224 offset:17472
	ds_read_b128 v[16:19], v224 offset:18368
	buffer_load_dword v26, off, s[36:39], 0 offset:424 ; 4-byte Folded Reload
	buffer_load_dword v27, off, s[36:39], 0 offset:428 ; 4-byte Folded Reload
	;; [unrolled: 1-line block ×4, first 2 shown]
	s_waitcnt vmcnt(0) lgkmcnt(1)
	v_mul_f64 v[20:21], v[28:29], v[10:11]
	v_fmac_f64_e32 v[20:21], v[26:27], v[8:9]
	v_mul_f64 v[8:9], v[28:29], v[8:9]
	v_fma_f64 v[8:9], v[26:27], v[10:11], -v[8:9]
	v_add_co_u32_e64 v28, s[0:1], s4, v24
	v_mul_f64 v[20:21], v[20:21], s[2:3]
	v_mul_f64 v[22:23], v[8:9], s[2:3]
	v_addc_co_u32_e64 v29, s[0:1], v25, v1, s[0:1]
	global_store_dwordx4 v[28:29], v[20:23], off
	ds_read_b128 v[8:11], v224 offset:25312
	ds_read_b128 v[20:23], v224 offset:26208
	buffer_load_dword v30, off, s[36:39], 0 offset:408 ; 4-byte Folded Reload
	buffer_load_dword v31, off, s[36:39], 0 offset:412 ; 4-byte Folded Reload
	;; [unrolled: 1-line block ×4, first 2 shown]
	v_add_co_u32_e64 v28, s[0:1], s4, v28
	v_addc_co_u32_e64 v29, s[0:1], v29, v1, s[0:1]
	s_waitcnt vmcnt(0) lgkmcnt(1)
	v_mul_f64 v[24:25], v[32:33], v[10:11]
	v_fmac_f64_e32 v[24:25], v[30:31], v[8:9]
	v_mul_f64 v[8:9], v[32:33], v[8:9]
	v_fma_f64 v[8:9], v[30:31], v[10:11], -v[8:9]
	v_mul_f64 v[24:25], v[24:25], s[2:3]
	v_mul_f64 v[26:27], v[8:9], s[2:3]
	global_store_dwordx4 v[28:29], v[24:27], off
	buffer_load_dword v24, off, s[36:39], 0 offset:392 ; 4-byte Folded Reload
	s_nop 0
	buffer_load_dword v25, off, s[36:39], 0 offset:396 ; 4-byte Folded Reload
	buffer_load_dword v26, off, s[36:39], 0 offset:400 ; 4-byte Folded Reload
	;; [unrolled: 1-line block ×3, first 2 shown]
	s_waitcnt vmcnt(0)
	v_mul_f64 v[8:9], v[26:27], v[6:7]
	v_fmac_f64_e32 v[8:9], v[24:25], v[4:5]
	v_mul_f64 v[4:5], v[26:27], v[4:5]
	v_fma_f64 v[4:5], v[24:25], v[6:7], -v[4:5]
	v_mad_u64_u32 v[24:25], s[0:1], s8, v0, v[28:29]
	v_mul_f64 v[8:9], v[8:9], s[2:3]
	v_mul_f64 v[10:11], v[4:5], s[2:3]
	v_add_u32_e32 v25, s10, v25
	global_store_dwordx4 v[24:25], v[8:11], off
	buffer_load_dword v8, off, s[36:39], 0 offset:376 ; 4-byte Folded Reload
	s_nop 0
	buffer_load_dword v9, off, s[36:39], 0 offset:380 ; 4-byte Folded Reload
	buffer_load_dword v10, off, s[36:39], 0 offset:384 ; 4-byte Folded Reload
	;; [unrolled: 1-line block ×3, first 2 shown]
	s_waitcnt vmcnt(0)
	v_mul_f64 v[4:5], v[10:11], v[14:15]
	v_mul_f64 v[6:7], v[10:11], v[12:13]
	v_fmac_f64_e32 v[4:5], v[8:9], v[12:13]
	v_fma_f64 v[6:7], v[8:9], v[14:15], -v[6:7]
	v_add_co_u32_e64 v8, s[0:1], s4, v24
	v_mul_f64 v[4:5], v[4:5], s[2:3]
	v_mul_f64 v[6:7], v[6:7], s[2:3]
	v_addc_co_u32_e64 v9, s[0:1], v25, v1, s[0:1]
	global_store_dwordx4 v[8:9], v[4:7], off
	buffer_load_dword v10, off, s[36:39], 0 offset:360 ; 4-byte Folded Reload
	buffer_load_dword v11, off, s[36:39], 0 offset:364 ; 4-byte Folded Reload
	;; [unrolled: 1-line block ×4, first 2 shown]
	s_waitcnt vmcnt(0)
	v_mul_f64 v[4:5], v[12:13], v[18:19]
	v_mul_f64 v[6:7], v[12:13], v[16:17]
	v_fmac_f64_e32 v[4:5], v[10:11], v[16:17]
	v_fma_f64 v[6:7], v[10:11], v[18:19], -v[6:7]
	v_add_co_u32_e64 v12, s[0:1], s4, v8
	v_mul_f64 v[4:5], v[4:5], s[2:3]
	v_mul_f64 v[6:7], v[6:7], s[2:3]
	v_addc_co_u32_e64 v13, s[0:1], v9, v1, s[0:1]
	global_store_dwordx4 v[12:13], v[4:7], off
	buffer_load_dword v8, off, s[36:39], 0 offset:472 ; 4-byte Folded Reload
	buffer_load_dword v9, off, s[36:39], 0 offset:476 ; 4-byte Folded Reload
	;; [unrolled: 1-line block ×4, first 2 shown]
	v_add_co_u32_e64 v16, s[0:1], s4, v12
	v_addc_co_u32_e64 v17, s[0:1], v13, v1, s[0:1]
	s_waitcnt vmcnt(0) lgkmcnt(0)
	v_mul_f64 v[4:5], v[10:11], v[22:23]
	v_mul_f64 v[6:7], v[10:11], v[20:21]
	v_fmac_f64_e32 v[4:5], v[8:9], v[20:21]
	v_fma_f64 v[6:7], v[8:9], v[22:23], -v[6:7]
	v_mul_f64 v[4:5], v[4:5], s[2:3]
	v_mul_f64 v[6:7], v[6:7], s[2:3]
	global_store_dwordx4 v[16:17], v[4:7], off
	ds_read_b128 v[8:11], v224 offset:3584
	ds_read_b128 v[4:7], v224 offset:4480
	buffer_load_dword v18, off, s[36:39], 0 offset:344 ; 4-byte Folded Reload
	buffer_load_dword v19, off, s[36:39], 0 offset:348 ; 4-byte Folded Reload
	;; [unrolled: 1-line block ×4, first 2 shown]
	s_waitcnt vmcnt(0) lgkmcnt(1)
	v_mul_f64 v[12:13], v[20:21], v[10:11]
	v_fmac_f64_e32 v[12:13], v[18:19], v[8:9]
	v_mul_f64 v[8:9], v[20:21], v[8:9]
	v_fma_f64 v[8:9], v[18:19], v[10:11], -v[8:9]
	v_mad_u64_u32 v[20:21], s[0:1], s8, v0, v[16:17]
	v_mul_f64 v[12:13], v[12:13], s[2:3]
	v_mul_f64 v[14:15], v[8:9], s[2:3]
	v_add_u32_e32 v21, s10, v21
	global_store_dwordx4 v[20:21], v[12:15], off
	ds_read_b128 v[8:11], v224 offset:11424
	ds_read_b128 v[12:15], v224 offset:12320
	buffer_load_dword v22, off, s[36:39], 0 offset:328 ; 4-byte Folded Reload
	buffer_load_dword v23, off, s[36:39], 0 offset:332 ; 4-byte Folded Reload
	;; [unrolled: 1-line block ×4, first 2 shown]
	s_waitcnt vmcnt(0) lgkmcnt(1)
	v_mul_f64 v[16:17], v[24:25], v[10:11]
	v_fmac_f64_e32 v[16:17], v[22:23], v[8:9]
	v_mul_f64 v[8:9], v[24:25], v[8:9]
	v_fma_f64 v[8:9], v[22:23], v[10:11], -v[8:9]
	v_add_co_u32_e64 v24, s[0:1], s4, v20
	v_mul_f64 v[16:17], v[16:17], s[2:3]
	v_mul_f64 v[18:19], v[8:9], s[2:3]
	v_addc_co_u32_e64 v25, s[0:1], v21, v1, s[0:1]
	global_store_dwordx4 v[24:25], v[16:19], off
	ds_read_b128 v[8:11], v224 offset:19264
	ds_read_b128 v[16:19], v224 offset:20160
	buffer_load_dword v26, off, s[36:39], 0 offset:312 ; 4-byte Folded Reload
	buffer_load_dword v27, off, s[36:39], 0 offset:316 ; 4-byte Folded Reload
	;; [unrolled: 1-line block ×4, first 2 shown]
	s_waitcnt vmcnt(0) lgkmcnt(1)
	v_mul_f64 v[20:21], v[28:29], v[10:11]
	v_fmac_f64_e32 v[20:21], v[26:27], v[8:9]
	v_mul_f64 v[8:9], v[28:29], v[8:9]
	v_fma_f64 v[8:9], v[26:27], v[10:11], -v[8:9]
	v_add_co_u32_e64 v28, s[0:1], s4, v24
	v_mul_f64 v[20:21], v[20:21], s[2:3]
	v_mul_f64 v[22:23], v[8:9], s[2:3]
	v_addc_co_u32_e64 v29, s[0:1], v25, v1, s[0:1]
	global_store_dwordx4 v[28:29], v[20:23], off
	ds_read_b128 v[8:11], v224 offset:27104
	ds_read_b128 v[20:23], v224 offset:28000
	buffer_load_dword v30, off, s[36:39], 0 offset:280 ; 4-byte Folded Reload
	buffer_load_dword v31, off, s[36:39], 0 offset:284 ; 4-byte Folded Reload
	;; [unrolled: 1-line block ×4, first 2 shown]
	v_add_co_u32_e64 v28, s[0:1], s4, v28
	v_addc_co_u32_e64 v29, s[0:1], v29, v1, s[0:1]
	s_waitcnt vmcnt(0) lgkmcnt(1)
	v_mul_f64 v[24:25], v[32:33], v[10:11]
	v_fmac_f64_e32 v[24:25], v[30:31], v[8:9]
	v_mul_f64 v[8:9], v[32:33], v[8:9]
	v_fma_f64 v[8:9], v[30:31], v[10:11], -v[8:9]
	v_mul_f64 v[24:25], v[24:25], s[2:3]
	v_mul_f64 v[26:27], v[8:9], s[2:3]
	global_store_dwordx4 v[28:29], v[24:27], off
	buffer_load_dword v24, off, s[36:39], 0 offset:264 ; 4-byte Folded Reload
	s_nop 0
	buffer_load_dword v25, off, s[36:39], 0 offset:268 ; 4-byte Folded Reload
	buffer_load_dword v26, off, s[36:39], 0 offset:272 ; 4-byte Folded Reload
	;; [unrolled: 1-line block ×3, first 2 shown]
	s_waitcnt vmcnt(0)
	v_mul_f64 v[8:9], v[26:27], v[6:7]
	v_fmac_f64_e32 v[8:9], v[24:25], v[4:5]
	v_mul_f64 v[4:5], v[26:27], v[4:5]
	v_fma_f64 v[4:5], v[24:25], v[6:7], -v[4:5]
	v_mad_u64_u32 v[24:25], s[0:1], s8, v0, v[28:29]
	v_mul_f64 v[8:9], v[8:9], s[2:3]
	v_mul_f64 v[10:11], v[4:5], s[2:3]
	v_add_u32_e32 v25, s10, v25
	global_store_dwordx4 v[24:25], v[8:11], off
	buffer_load_dword v8, off, s[36:39], 0 offset:248 ; 4-byte Folded Reload
	s_nop 0
	buffer_load_dword v9, off, s[36:39], 0 offset:252 ; 4-byte Folded Reload
	buffer_load_dword v10, off, s[36:39], 0 offset:256 ; 4-byte Folded Reload
	;; [unrolled: 1-line block ×3, first 2 shown]
	s_waitcnt vmcnt(0)
	v_mul_f64 v[4:5], v[10:11], v[14:15]
	v_mul_f64 v[6:7], v[10:11], v[12:13]
	v_fmac_f64_e32 v[4:5], v[8:9], v[12:13]
	v_fma_f64 v[6:7], v[8:9], v[14:15], -v[6:7]
	v_add_co_u32_e64 v8, s[0:1], s4, v24
	v_mul_f64 v[4:5], v[4:5], s[2:3]
	v_mul_f64 v[6:7], v[6:7], s[2:3]
	v_addc_co_u32_e64 v9, s[0:1], v25, v1, s[0:1]
	global_store_dwordx4 v[8:9], v[4:7], off
	buffer_load_dword v10, off, s[36:39], 0 offset:232 ; 4-byte Folded Reload
	buffer_load_dword v11, off, s[36:39], 0 offset:236 ; 4-byte Folded Reload
	;; [unrolled: 1-line block ×4, first 2 shown]
	s_waitcnt vmcnt(0)
	v_mul_f64 v[4:5], v[12:13], v[18:19]
	v_mul_f64 v[6:7], v[12:13], v[16:17]
	v_fmac_f64_e32 v[4:5], v[10:11], v[16:17]
	v_fma_f64 v[6:7], v[10:11], v[18:19], -v[6:7]
	v_add_co_u32_e64 v12, s[0:1], s4, v8
	v_mul_f64 v[4:5], v[4:5], s[2:3]
	v_mul_f64 v[6:7], v[6:7], s[2:3]
	v_addc_co_u32_e64 v13, s[0:1], v9, v1, s[0:1]
	global_store_dwordx4 v[12:13], v[4:7], off
	buffer_load_dword v8, off, s[36:39], 0 offset:216 ; 4-byte Folded Reload
	buffer_load_dword v9, off, s[36:39], 0 offset:220 ; 4-byte Folded Reload
	;; [unrolled: 1-line block ×4, first 2 shown]
	v_add_co_u32_e64 v16, s[0:1], s4, v12
	v_addc_co_u32_e64 v17, s[0:1], v13, v1, s[0:1]
	s_waitcnt vmcnt(0) lgkmcnt(0)
	v_mul_f64 v[4:5], v[10:11], v[22:23]
	v_mul_f64 v[6:7], v[10:11], v[20:21]
	v_fmac_f64_e32 v[4:5], v[8:9], v[20:21]
	v_fma_f64 v[6:7], v[8:9], v[22:23], -v[6:7]
	v_mul_f64 v[4:5], v[4:5], s[2:3]
	v_mul_f64 v[6:7], v[6:7], s[2:3]
	global_store_dwordx4 v[16:17], v[4:7], off
	ds_read_b128 v[8:11], v224 offset:5376
	ds_read_b128 v[4:7], v224 offset:6272
	buffer_load_dword v18, off, s[36:39], 0 offset:200 ; 4-byte Folded Reload
	buffer_load_dword v19, off, s[36:39], 0 offset:204 ; 4-byte Folded Reload
	;; [unrolled: 1-line block ×4, first 2 shown]
	s_waitcnt vmcnt(0) lgkmcnt(1)
	v_mul_f64 v[12:13], v[20:21], v[10:11]
	v_fmac_f64_e32 v[12:13], v[18:19], v[8:9]
	v_mul_f64 v[8:9], v[20:21], v[8:9]
	v_fma_f64 v[8:9], v[18:19], v[10:11], -v[8:9]
	v_mad_u64_u32 v[20:21], s[0:1], s8, v0, v[16:17]
	v_mul_f64 v[12:13], v[12:13], s[2:3]
	v_mul_f64 v[14:15], v[8:9], s[2:3]
	v_add_u32_e32 v21, s10, v21
	global_store_dwordx4 v[20:21], v[12:15], off
	ds_read_b128 v[8:11], v224 offset:13216
	ds_read_b128 v[12:15], v224 offset:14112
	buffer_load_dword v22, off, s[36:39], 0 offset:184 ; 4-byte Folded Reload
	buffer_load_dword v23, off, s[36:39], 0 offset:188 ; 4-byte Folded Reload
	;; [unrolled: 1-line block ×4, first 2 shown]
	s_waitcnt vmcnt(0) lgkmcnt(1)
	v_mul_f64 v[16:17], v[24:25], v[10:11]
	v_fmac_f64_e32 v[16:17], v[22:23], v[8:9]
	v_mul_f64 v[8:9], v[24:25], v[8:9]
	v_fma_f64 v[8:9], v[22:23], v[10:11], -v[8:9]
	v_add_co_u32_e64 v24, s[0:1], s4, v20
	v_mul_f64 v[16:17], v[16:17], s[2:3]
	v_mul_f64 v[18:19], v[8:9], s[2:3]
	v_addc_co_u32_e64 v25, s[0:1], v21, v1, s[0:1]
	global_store_dwordx4 v[24:25], v[16:19], off
	ds_read_b128 v[8:11], v224 offset:21056
	ds_read_b128 v[16:19], v224 offset:21952
	buffer_load_dword v26, off, s[36:39], 0 offset:168 ; 4-byte Folded Reload
	buffer_load_dword v27, off, s[36:39], 0 offset:172 ; 4-byte Folded Reload
	;; [unrolled: 1-line block ×4, first 2 shown]
	s_waitcnt vmcnt(0) lgkmcnt(1)
	v_mul_f64 v[20:21], v[28:29], v[10:11]
	v_fmac_f64_e32 v[20:21], v[26:27], v[8:9]
	v_mul_f64 v[8:9], v[28:29], v[8:9]
	v_fma_f64 v[8:9], v[26:27], v[10:11], -v[8:9]
	v_add_co_u32_e64 v28, s[0:1], s4, v24
	v_mul_f64 v[20:21], v[20:21], s[2:3]
	v_mul_f64 v[22:23], v[8:9], s[2:3]
	v_addc_co_u32_e64 v29, s[0:1], v25, v1, s[0:1]
	global_store_dwordx4 v[28:29], v[20:23], off
	ds_read_b128 v[8:11], v224 offset:28896
	ds_read_b128 v[20:23], v224 offset:29792
	buffer_load_dword v30, off, s[36:39], 0 offset:152 ; 4-byte Folded Reload
	buffer_load_dword v31, off, s[36:39], 0 offset:156 ; 4-byte Folded Reload
	;; [unrolled: 1-line block ×4, first 2 shown]
	v_add_co_u32_e64 v28, s[0:1], s4, v28
	v_addc_co_u32_e64 v29, s[0:1], v29, v1, s[0:1]
	s_waitcnt vmcnt(0) lgkmcnt(1)
	v_mul_f64 v[24:25], v[32:33], v[10:11]
	v_fmac_f64_e32 v[24:25], v[30:31], v[8:9]
	v_mul_f64 v[8:9], v[32:33], v[8:9]
	v_fma_f64 v[8:9], v[30:31], v[10:11], -v[8:9]
	v_mul_f64 v[24:25], v[24:25], s[2:3]
	v_mul_f64 v[26:27], v[8:9], s[2:3]
	global_store_dwordx4 v[28:29], v[24:27], off
	buffer_load_dword v24, off, s[36:39], 0 offset:136 ; 4-byte Folded Reload
	s_nop 0
	buffer_load_dword v25, off, s[36:39], 0 offset:140 ; 4-byte Folded Reload
	buffer_load_dword v26, off, s[36:39], 0 offset:144 ; 4-byte Folded Reload
	;; [unrolled: 1-line block ×3, first 2 shown]
	s_waitcnt vmcnt(0)
	v_mul_f64 v[8:9], v[26:27], v[6:7]
	v_fmac_f64_e32 v[8:9], v[24:25], v[4:5]
	v_mul_f64 v[4:5], v[26:27], v[4:5]
	v_fma_f64 v[4:5], v[24:25], v[6:7], -v[4:5]
	v_mad_u64_u32 v[24:25], s[0:1], s8, v0, v[28:29]
	v_mul_f64 v[8:9], v[8:9], s[2:3]
	v_mul_f64 v[10:11], v[4:5], s[2:3]
	v_add_u32_e32 v25, s10, v25
	global_store_dwordx4 v[24:25], v[8:11], off
	buffer_load_dword v8, off, s[36:39], 0 offset:120 ; 4-byte Folded Reload
	s_nop 0
	buffer_load_dword v9, off, s[36:39], 0 offset:124 ; 4-byte Folded Reload
	buffer_load_dword v10, off, s[36:39], 0 offset:128 ; 4-byte Folded Reload
	;; [unrolled: 1-line block ×3, first 2 shown]
	s_waitcnt vmcnt(0)
	v_mul_f64 v[4:5], v[10:11], v[14:15]
	v_mul_f64 v[6:7], v[10:11], v[12:13]
	v_fmac_f64_e32 v[4:5], v[8:9], v[12:13]
	v_fma_f64 v[6:7], v[8:9], v[14:15], -v[6:7]
	v_add_co_u32_e64 v8, s[0:1], s4, v24
	v_mul_f64 v[4:5], v[4:5], s[2:3]
	v_mul_f64 v[6:7], v[6:7], s[2:3]
	v_addc_co_u32_e64 v9, s[0:1], v25, v1, s[0:1]
	global_store_dwordx4 v[8:9], v[4:7], off
	buffer_load_dword v10, off, s[36:39], 0 offset:104 ; 4-byte Folded Reload
	buffer_load_dword v11, off, s[36:39], 0 offset:108 ; 4-byte Folded Reload
	;; [unrolled: 1-line block ×4, first 2 shown]
	v_add_co_u32_e64 v8, s[0:1], s4, v8
	v_addc_co_u32_e64 v9, s[0:1], v9, v1, s[0:1]
	v_add_co_u32_e64 v0, s[0:1], s4, v8
	v_addc_co_u32_e64 v1, s[0:1], v9, v1, s[0:1]
	s_and_b64 s[0:1], exec, vcc
	v_accvgpr_read_b32 v24, a2
	s_waitcnt vmcnt(0)
	v_mul_f64 v[4:5], v[12:13], v[18:19]
	v_mul_f64 v[6:7], v[12:13], v[16:17]
	v_fmac_f64_e32 v[4:5], v[10:11], v[16:17]
	v_fma_f64 v[6:7], v[10:11], v[18:19], -v[6:7]
	v_mul_f64 v[4:5], v[4:5], s[2:3]
	v_mul_f64 v[6:7], v[6:7], s[2:3]
	global_store_dwordx4 v[8:9], v[4:7], off
	buffer_load_dword v10, off, s[36:39], 0 offset:88 ; 4-byte Folded Reload
	buffer_load_dword v11, off, s[36:39], 0 offset:92 ; 4-byte Folded Reload
	;; [unrolled: 1-line block ×4, first 2 shown]
	s_waitcnt vmcnt(0) lgkmcnt(0)
	v_mul_f64 v[4:5], v[12:13], v[22:23]
	v_mul_f64 v[6:7], v[12:13], v[20:21]
	v_fmac_f64_e32 v[4:5], v[10:11], v[20:21]
	v_fma_f64 v[6:7], v[10:11], v[22:23], -v[6:7]
	v_mul_f64 v[4:5], v[4:5], s[2:3]
	v_mul_f64 v[6:7], v[6:7], s[2:3]
	global_store_dwordx4 v[0:1], v[4:7], off
	s_mov_b64 exec, s[0:1]
	s_cbranch_execz .LBB0_23
; %bb.22:
	buffer_load_dword v4, off, s[36:39], 0  ; 4-byte Folded Reload
	v_mad_u64_u32 v[16:17], s[0:1], s8, v24, 0
	s_movk_i32 s0, 0x3000
	v_mov_b32_e32 v18, v17
	s_waitcnt vmcnt(0)
	global_load_dwordx4 v[4:7], v4, s[6:7]
	ds_read_b128 v[8:11], v224 offset:7168
	ds_read_b128 v[12:15], v224 offset:15008
	buffer_load_dword v22, off, s[36:39], 0 offset:600 ; 4-byte Folded Reload
	buffer_load_dword v23, off, s[36:39], 0 offset:604 ; 4-byte Folded Reload
	s_mul_i32 s6, s9, 0xffffc640
	s_movk_i32 s7, 0x5000
	s_waitcnt vmcnt(1)
	v_add_co_u32_e32 v20, vcc, s0, v22
	v_mad_u64_u32 v[18:19], s[0:1], s9, v24, v[18:19]
	v_mov_b32_e32 v17, v18
	s_waitcnt vmcnt(0)
	v_addc_co_u32_e32 v21, vcc, 0, v23, vcc
	v_lshlrev_b64 v[16:17], 4, v[16:17]
	v_add_co_u32_e32 v16, vcc, v2, v16
	v_addc_co_u32_e32 v17, vcc, v3, v17, vcc
	s_waitcnt lgkmcnt(1)
	v_mul_f64 v[2:3], v[10:11], v[6:7]
	v_mul_f64 v[6:7], v[8:9], v[6:7]
	v_fmac_f64_e32 v[2:3], v[8:9], v[4:5]
	v_fma_f64 v[4:5], v[4:5], v[10:11], -v[6:7]
	v_mul_f64 v[2:3], v[2:3], s[2:3]
	v_mul_f64 v[4:5], v[4:5], s[2:3]
	global_store_dwordx4 v[16:17], v[2:5], off
	global_load_dwordx4 v[2:5], v[20:21], off offset:2720
	v_mov_b32_e32 v6, 0xffffc640
	v_mad_u64_u32 v[16:17], s[0:1], s8, v6, v[0:1]
	s_sub_i32 s0, s6, s8
	v_add_co_u32_e32 v6, vcc, s7, v22
	v_add_u32_e32 v17, s0, v17
	v_addc_co_u32_e32 v7, vcc, 0, v23, vcc
	s_movk_i32 s0, 0x7000
	v_mov_b32_e32 v18, s5
	s_waitcnt vmcnt(0) lgkmcnt(0)
	v_mul_f64 v[0:1], v[14:15], v[4:5]
	v_mul_f64 v[4:5], v[12:13], v[4:5]
	v_fmac_f64_e32 v[0:1], v[12:13], v[2:3]
	v_fma_f64 v[2:3], v[2:3], v[14:15], -v[4:5]
	v_mul_f64 v[0:1], v[0:1], s[2:3]
	v_mul_f64 v[2:3], v[2:3], s[2:3]
	global_store_dwordx4 v[16:17], v[0:3], off
	global_load_dwordx4 v[0:3], v[6:7], off offset:2368
	ds_read_b128 v[4:7], v224 offset:22848
	ds_read_b128 v[8:11], v224 offset:30688
	v_add_co_u32_e32 v12, vcc, s0, v22
	v_addc_co_u32_e32 v13, vcc, 0, v23, vcc
	v_add_co_u32_e32 v14, vcc, s4, v16
	v_addc_co_u32_e32 v15, vcc, v17, v18, vcc
	s_waitcnt vmcnt(0) lgkmcnt(1)
	v_mul_f64 v[16:17], v[6:7], v[2:3]
	v_mul_f64 v[2:3], v[4:5], v[2:3]
	v_fmac_f64_e32 v[16:17], v[4:5], v[0:1]
	v_fma_f64 v[2:3], v[0:1], v[6:7], -v[2:3]
	v_mul_f64 v[0:1], v[16:17], s[2:3]
	v_mul_f64 v[2:3], v[2:3], s[2:3]
	global_store_dwordx4 v[14:15], v[0:3], off
	global_load_dwordx4 v[0:3], v[12:13], off offset:2016
	s_waitcnt vmcnt(0) lgkmcnt(0)
	v_mul_f64 v[4:5], v[10:11], v[2:3]
	v_mul_f64 v[2:3], v[8:9], v[2:3]
	v_fmac_f64_e32 v[4:5], v[8:9], v[0:1]
	v_fma_f64 v[2:3], v[0:1], v[10:11], -v[2:3]
	v_mul_f64 v[0:1], v[4:5], s[2:3]
	v_add_co_u32_e32 v4, vcc, s4, v14
	v_mul_f64 v[2:3], v[2:3], s[2:3]
	v_addc_co_u32_e32 v5, vcc, v15, v18, vcc
	global_store_dwordx4 v[4:5], v[0:3], off
.LBB0_23:
	s_endpgm
	.section	.rodata,"a",@progbits
	.p2align	6, 0x0
	.amdhsa_kernel bluestein_single_back_len1960_dim1_dp_op_CI_CI
		.amdhsa_group_segment_fixed_size 31360
		.amdhsa_private_segment_fixed_size 612
		.amdhsa_kernarg_size 104
		.amdhsa_user_sgpr_count 6
		.amdhsa_user_sgpr_private_segment_buffer 1
		.amdhsa_user_sgpr_dispatch_ptr 0
		.amdhsa_user_sgpr_queue_ptr 0
		.amdhsa_user_sgpr_kernarg_segment_ptr 1
		.amdhsa_user_sgpr_dispatch_id 0
		.amdhsa_user_sgpr_flat_scratch_init 0
		.amdhsa_user_sgpr_kernarg_preload_length 0
		.amdhsa_user_sgpr_kernarg_preload_offset 0
		.amdhsa_user_sgpr_private_segment_size 0
		.amdhsa_uses_dynamic_stack 0
		.amdhsa_system_sgpr_private_segment_wavefront_offset 1
		.amdhsa_system_sgpr_workgroup_id_x 1
		.amdhsa_system_sgpr_workgroup_id_y 0
		.amdhsa_system_sgpr_workgroup_id_z 0
		.amdhsa_system_sgpr_workgroup_info 0
		.amdhsa_system_vgpr_workitem_id 0
		.amdhsa_next_free_vgpr 512
		.amdhsa_next_free_sgpr 40
		.amdhsa_accum_offset 256
		.amdhsa_reserve_vcc 1
		.amdhsa_reserve_flat_scratch 0
		.amdhsa_float_round_mode_32 0
		.amdhsa_float_round_mode_16_64 0
		.amdhsa_float_denorm_mode_32 3
		.amdhsa_float_denorm_mode_16_64 3
		.amdhsa_dx10_clamp 1
		.amdhsa_ieee_mode 1
		.amdhsa_fp16_overflow 0
		.amdhsa_tg_split 0
		.amdhsa_exception_fp_ieee_invalid_op 0
		.amdhsa_exception_fp_denorm_src 0
		.amdhsa_exception_fp_ieee_div_zero 0
		.amdhsa_exception_fp_ieee_overflow 0
		.amdhsa_exception_fp_ieee_underflow 0
		.amdhsa_exception_fp_ieee_inexact 0
		.amdhsa_exception_int_div_zero 0
	.end_amdhsa_kernel
	.text
.Lfunc_end0:
	.size	bluestein_single_back_len1960_dim1_dp_op_CI_CI, .Lfunc_end0-bluestein_single_back_len1960_dim1_dp_op_CI_CI
                                        ; -- End function
	.section	.AMDGPU.csdata,"",@progbits
; Kernel info:
; codeLenInByte = 51440
; NumSgprs: 44
; NumVgprs: 256
; NumAgprs: 256
; TotalNumVgprs: 512
; ScratchSize: 612
; MemoryBound: 0
; FloatMode: 240
; IeeeMode: 1
; LDSByteSize: 31360 bytes/workgroup (compile time only)
; SGPRBlocks: 5
; VGPRBlocks: 63
; NumSGPRsForWavesPerEU: 44
; NumVGPRsForWavesPerEU: 512
; AccumOffset: 256
; Occupancy: 1
; WaveLimiterHint : 1
; COMPUTE_PGM_RSRC2:SCRATCH_EN: 1
; COMPUTE_PGM_RSRC2:USER_SGPR: 6
; COMPUTE_PGM_RSRC2:TRAP_HANDLER: 0
; COMPUTE_PGM_RSRC2:TGID_X_EN: 1
; COMPUTE_PGM_RSRC2:TGID_Y_EN: 0
; COMPUTE_PGM_RSRC2:TGID_Z_EN: 0
; COMPUTE_PGM_RSRC2:TIDIG_COMP_CNT: 0
; COMPUTE_PGM_RSRC3_GFX90A:ACCUM_OFFSET: 63
; COMPUTE_PGM_RSRC3_GFX90A:TG_SPLIT: 0
	.text
	.p2alignl 6, 3212836864
	.fill 256, 4, 3212836864
	.type	__hip_cuid_e893750f2f75658e,@object ; @__hip_cuid_e893750f2f75658e
	.section	.bss,"aw",@nobits
	.globl	__hip_cuid_e893750f2f75658e
__hip_cuid_e893750f2f75658e:
	.byte	0                               ; 0x0
	.size	__hip_cuid_e893750f2f75658e, 1

	.ident	"AMD clang version 19.0.0git (https://github.com/RadeonOpenCompute/llvm-project roc-6.4.0 25133 c7fe45cf4b819c5991fe208aaa96edf142730f1d)"
	.section	".note.GNU-stack","",@progbits
	.addrsig
	.addrsig_sym __hip_cuid_e893750f2f75658e
	.amdgpu_metadata
---
amdhsa.kernels:
  - .agpr_count:     256
    .args:
      - .actual_access:  read_only
        .address_space:  global
        .offset:         0
        .size:           8
        .value_kind:     global_buffer
      - .actual_access:  read_only
        .address_space:  global
        .offset:         8
        .size:           8
        .value_kind:     global_buffer
      - .actual_access:  read_only
        .address_space:  global
        .offset:         16
        .size:           8
        .value_kind:     global_buffer
      - .actual_access:  read_only
        .address_space:  global
        .offset:         24
        .size:           8
        .value_kind:     global_buffer
      - .actual_access:  read_only
        .address_space:  global
        .offset:         32
        .size:           8
        .value_kind:     global_buffer
      - .offset:         40
        .size:           8
        .value_kind:     by_value
      - .address_space:  global
        .offset:         48
        .size:           8
        .value_kind:     global_buffer
      - .address_space:  global
        .offset:         56
        .size:           8
        .value_kind:     global_buffer
      - .address_space:  global
        .offset:         64
        .size:           8
        .value_kind:     global_buffer
      - .address_space:  global
        .offset:         72
        .size:           8
        .value_kind:     global_buffer
      - .offset:         80
        .size:           4
        .value_kind:     by_value
      - .address_space:  global
        .offset:         88
        .size:           8
        .value_kind:     global_buffer
      - .address_space:  global
        .offset:         96
        .size:           8
        .value_kind:     global_buffer
    .group_segment_fixed_size: 31360
    .kernarg_segment_align: 8
    .kernarg_segment_size: 104
    .language:       OpenCL C
    .language_version:
      - 2
      - 0
    .max_flat_workgroup_size: 56
    .name:           bluestein_single_back_len1960_dim1_dp_op_CI_CI
    .private_segment_fixed_size: 612
    .sgpr_count:     44
    .sgpr_spill_count: 0
    .symbol:         bluestein_single_back_len1960_dim1_dp_op_CI_CI.kd
    .uniform_work_group_size: 1
    .uses_dynamic_stack: false
    .vgpr_count:     512
    .vgpr_spill_count: 152
    .wavefront_size: 64
amdhsa.target:   amdgcn-amd-amdhsa--gfx90a
amdhsa.version:
  - 1
  - 2
...

	.end_amdgpu_metadata
